;; amdgpu-corpus repo=ROCm/rocFFT kind=compiled arch=gfx906 opt=O3
	.text
	.amdgcn_target "amdgcn-amd-amdhsa--gfx906"
	.amdhsa_code_object_version 6
	.protected	fft_rtc_back_len289_factors_17_17_wgs_119_tpt_17_sp_op_CI_CI_sbrc_erc_z_xy_aligned_dirReg ; -- Begin function fft_rtc_back_len289_factors_17_17_wgs_119_tpt_17_sp_op_CI_CI_sbrc_erc_z_xy_aligned_dirReg
	.globl	fft_rtc_back_len289_factors_17_17_wgs_119_tpt_17_sp_op_CI_CI_sbrc_erc_z_xy_aligned_dirReg
	.p2align	8
	.type	fft_rtc_back_len289_factors_17_17_wgs_119_tpt_17_sp_op_CI_CI_sbrc_erc_z_xy_aligned_dirReg,@function
fft_rtc_back_len289_factors_17_17_wgs_119_tpt_17_sp_op_CI_CI_sbrc_erc_z_xy_aligned_dirReg: ; @fft_rtc_back_len289_factors_17_17_wgs_119_tpt_17_sp_op_CI_CI_sbrc_erc_z_xy_aligned_dirReg
; %bb.0:
	s_load_dwordx8 s[8:15], s[4:5], 0x0
	v_add_u16_e32 v44, 0x77, v0
	v_mov_b32_e32 v17, 0
	s_waitcnt lgkmcnt(0)
	s_load_dwordx4 s[0:3], s[12:13], 0x8
	s_load_dwordx4 s[20:23], s[14:15], 0x0
	s_waitcnt lgkmcnt(0)
	s_load_dword s3, s[14:15], 0x10
	s_add_i32 s0, s0, -1
	s_mul_hi_u32 s1, s0, 0x24924925
	s_sub_i32 s0, s0, s1
	s_lshr_b32 s0, s0, 1
	s_add_i32 s0, s0, s1
	s_lshr_b32 s0, s0, 2
	s_add_i32 s1, s0, 1
	s_mul_i32 s2, s1, s2
	v_cvt_f32_u32_e32 v2, s2
	v_cvt_f32_u32_e32 v1, s1
	s_sub_i32 s7, 0, s2
	v_rcp_iflag_f32_e32 v2, v2
	v_rcp_iflag_f32_e32 v1, v1
	v_mul_f32_e32 v2, 0x4f7ffffe, v2
	v_cvt_u32_f32_e32 v2, v2
	v_mul_f32_e32 v1, 0x4f7ffffe, v1
	v_cvt_u32_f32_e32 v1, v1
	v_readfirstlane_b32 s13, v2
	s_mul_i32 s7, s7, s13
	s_mul_hi_u32 s7, s13, s7
	s_add_i32 s13, s13, s7
	s_mul_hi_u32 s7, s6, s13
	s_mul_i32 s13, s7, s2
	s_sub_i32 s13, s6, s13
	s_add_i32 s16, s7, 1
	s_sub_i32 s17, s13, s2
	s_cmp_ge_u32 s13, s2
	s_cselect_b32 s7, s16, s7
	s_cselect_b32 s13, s17, s13
	s_add_i32 s16, s7, 1
	s_cmp_ge_u32 s13, s2
	v_readfirstlane_b32 s12, v1
	s_cselect_b32 s23, s16, s7
	s_not_b32 s0, s0
	s_mul_i32 s0, s0, s12
	s_mul_i32 s2, s23, s2
	s_mul_hi_u32 s0, s12, s0
	s_sub_i32 s2, s6, s2
	s_add_i32 s12, s12, s0
	s_mul_hi_u32 s0, s2, s12
	s_mul_i32 s7, s0, s1
	s_sub_i32 s2, s2, s7
	s_add_i32 s13, s0, 1
	s_sub_i32 s7, s2, s1
	s_cmp_ge_u32 s2, s1
	s_cselect_b32 s0, s13, s0
	s_cselect_b32 s2, s7, s2
	s_add_i32 s7, s0, 1
	s_cmp_ge_u32 s2, s1
	s_cselect_b32 s24, s7, s0
	s_mul_hi_u32 s0, s6, s12
	s_mul_i32 s0, s0, s1
	s_sub_i32 s0, s6, s0
	s_sub_i32 s2, s0, s1
	s_cmp_ge_u32 s0, s1
	s_load_dwordx2 s[6:7], s[4:5], 0x20
	s_cselect_b32 s0, s2, s0
	s_sub_i32 s2, s0, s1
	s_cmp_ge_u32 s0, s1
	s_cselect_b32 s12, s2, s0
	s_waitcnt lgkmcnt(0)
	s_mul_i32 s13, s24, s3
	s_load_dwordx4 s[0:3], s[4:5], 0x58
	s_load_dwordx4 s[16:19], s[6:7], 0x0
	s_mul_i32 s4, s12, 7
	s_mul_i32 s5, s4, s22
	s_add_i32 s12, s5, s13
	s_lshl_b64 s[10:11], s[10:11], 3
	s_waitcnt lgkmcnt(0)
	s_mul_i32 s5, s17, s4
	s_mul_hi_u32 s13, s16, s4
	s_add_i32 s5, s13, s5
	s_add_u32 s14, s14, s10
	s_addc_u32 s15, s15, s11
	s_load_dwordx2 s[14:15], s[14:15], 0x0
	v_mad_u64_u32 v[1:2], s[26:27], s20, v0, 0
	s_load_dword s19, s[6:7], 0x10
	s_mov_b32 s13, 0
	s_waitcnt lgkmcnt(0)
	s_mul_i32 s15, s15, s23
	s_mul_hi_u32 s25, s14, s23
	s_add_i32 s15, s25, s15
	s_add_u32 s6, s6, s10
	s_addc_u32 s7, s7, s11
	s_load_dwordx2 s[6:7], s[6:7], 0x0
	v_mad_u64_u32 v[2:3], s[10:11], s21, v0, v[2:3]
	s_mul_i32 s14, s14, s23
	s_waitcnt lgkmcnt(0)
	s_mul_i32 s7, s7, s23
	s_mul_hi_u32 s10, s6, s23
	s_add_i32 s7, s10, s7
	s_lshl_b64 s[10:11], s[14:15], 3
	s_add_u32 s10, s0, s10
	s_addc_u32 s14, s1, s11
	s_lshl_b64 s[0:1], s[12:13], 3
	s_add_u32 s0, s10, s0
	v_mad_u64_u32 v[3:4], s[10:11], s20, v44, 0
	v_lshlrev_b64 v[1:2], 3, v[1:2]
	s_addc_u32 s1, s14, s1
	v_mad_u64_u32 v[4:5], s[10:11], s21, v44, v[4:5]
	v_mov_b32_e32 v6, s1
	v_add_co_u32_e32 v1, vcc, s0, v1
	v_add_u16_e32 v5, 0xee, v0
	v_addc_co_u32_e32 v2, vcc, v6, v2, vcc
	v_mul_u32_u24_e32 v6, 0xe3, v5
	v_lshrrev_b32_e32 v45, 16, v6
	v_mul_lo_u16_e32 v6, 0x121, v45
	v_sub_u16_e32 v46, v5, v6
	v_mad_u64_u32 v[5:6], s[10:11], s20, v46, 0
	v_lshlrev_b64 v[3:4], 3, v[3:4]
	v_mov_b32_e32 v8, s1
	v_mad_u64_u32 v[6:7], s[10:11], s21, v46, v[6:7]
	v_add_co_u32_e32 v3, vcc, s0, v3
	v_add_u16_e32 v7, 0x165, v0
	v_addc_co_u32_e32 v4, vcc, v8, v4, vcc
	v_mul_u32_u24_e32 v8, 0xe3, v7
	v_lshrrev_b32_e32 v47, 16, v8
	v_mul_lo_u16_e32 v8, 0x121, v47
	v_sub_u16_e32 v48, v7, v8
	v_mul_lo_u32 v16, s22, v45
	v_mad_u64_u32 v[7:8], s[10:11], s20, v48, 0
	v_lshlrev_b64 v[5:6], 3, v[5:6]
	v_mov_b32_e32 v9, s1
	v_add_co_u32_e32 v10, vcc, s0, v5
	v_addc_co_u32_e32 v11, vcc, v9, v6, vcc
	v_lshlrev_b64 v[5:6], 3, v[16:17]
	v_mad_u64_u32 v[8:9], s[10:11], s21, v48, v[8:9]
	v_add_u16_e32 v9, 0x1dc, v0
	v_add_co_u32_e32 v5, vcc, v10, v5
	v_mul_u32_u24_e32 v10, 0xe3, v9
	v_lshrrev_b32_e32 v49, 16, v10
	v_mul_lo_u32 v16, s22, v47
	v_mul_lo_u16_e32 v10, 0x121, v49
	v_lshlrev_b64 v[7:8], 3, v[7:8]
	v_sub_u16_e32 v50, v9, v10
	v_addc_co_u32_e32 v6, vcc, v11, v6, vcc
	v_mad_u64_u32 v[9:10], s[10:11], s20, v50, 0
	v_mov_b32_e32 v11, s1
	v_add_co_u32_e32 v12, vcc, s0, v7
	v_addc_co_u32_e32 v13, vcc, v11, v8, vcc
	v_lshlrev_b64 v[7:8], 3, v[16:17]
	v_mad_u64_u32 v[10:11], s[10:11], s21, v50, v[10:11]
	v_add_co_u32_e32 v7, vcc, v12, v7
	v_addc_co_u32_e32 v8, vcc, v13, v8, vcc
	global_load_dwordx2 v[11:12], v[1:2], off
	global_load_dwordx2 v[13:14], v[3:4], off
	;; [unrolled: 1-line block ×4, first 2 shown]
	v_add_u16_e32 v3, 0x253, v0
	v_mul_u32_u24_e32 v4, 0xe3, v3
	v_lshrrev_b32_e32 v51, 16, v4
	v_mul_lo_u16_e32 v4, 0x121, v51
	v_sub_u16_e32 v52, v3, v4
	v_mul_lo_u32 v16, s22, v49
	v_mad_u64_u32 v[3:4], s[10:11], s20, v52, 0
	v_lshlrev_b64 v[1:2], 3, v[9:10]
	v_mov_b32_e32 v5, s1
	v_add_co_u32_e32 v6, vcc, s0, v1
	v_addc_co_u32_e32 v7, vcc, v5, v2, vcc
	v_lshlrev_b64 v[1:2], 3, v[16:17]
	v_mad_u64_u32 v[4:5], s[10:11], s21, v52, v[4:5]
	v_add_u16_e32 v5, 0x2ca, v0
	v_add_co_u32_e32 v1, vcc, v6, v1
	v_mul_u32_u24_e32 v6, 0xe3, v5
	v_lshrrev_b32_e32 v53, 16, v6
	v_mul_lo_u16_e32 v6, 0x121, v53
	v_sub_u16_e32 v54, v5, v6
	v_mul_lo_u32 v16, s22, v51
	v_mad_u64_u32 v[5:6], s[10:11], s20, v54, 0
	v_lshlrev_b64 v[3:4], 3, v[3:4]
	v_addc_co_u32_e32 v2, vcc, v7, v2, vcc
	v_mov_b32_e32 v7, s1
	v_add_co_u32_e32 v8, vcc, s0, v3
	v_addc_co_u32_e32 v9, vcc, v7, v4, vcc
	v_lshlrev_b64 v[3:4], 3, v[16:17]
	v_mad_u64_u32 v[6:7], s[10:11], s21, v54, v[6:7]
	v_add_u16_e32 v7, 0x341, v0
	v_add_co_u32_e32 v3, vcc, v8, v3
	v_mul_u32_u24_e32 v8, 0xe3, v7
	v_lshrrev_b32_e32 v55, 16, v8
	v_mul_lo_u16_e32 v8, 0x121, v55
	v_sub_u16_e32 v56, v7, v8
	v_mul_lo_u32 v16, s22, v53
	v_mad_u64_u32 v[7:8], s[10:11], s20, v56, 0
	v_lshlrev_b64 v[5:6], 3, v[5:6]
	v_addc_co_u32_e32 v4, vcc, v9, v4, vcc
	;; [unrolled: 15-line block ×3, first 2 shown]
	v_mov_b32_e32 v15, s1
	v_add_co_u32_e32 v22, vcc, s0, v7
	v_addc_co_u32_e32 v23, vcc, v15, v8, vcc
	v_lshlrev_b64 v[7:8], 3, v[16:17]
	s_waitcnt vmcnt(3)
	v_mad_u64_u32 v[15:16], s[10:11], s21, v58, v[10:11]
	v_add_co_u32_e32 v7, vcc, v22, v7
	v_add_u16_e32 v22, 0x42f, v0
	v_addc_co_u32_e32 v8, vcc, v23, v8, vcc
	v_mul_u32_u24_e32 v23, 0x717, v22
	v_mov_b32_e32 v10, v15
	v_mul_lo_u32 v16, s22, v57
	v_lshrrev_b32_e32 v59, 19, v23
	v_lshlrev_b64 v[9:10], 3, v[9:10]
	v_mul_lo_u16_e32 v23, 0x121, v59
	v_sub_u16_e32 v60, v22, v23
	v_mov_b32_e32 v15, s1
	v_mad_u64_u32 v[22:23], s[10:11], s20, v60, 0
	v_add_co_u32_e32 v24, vcc, s0, v9
	v_addc_co_u32_e32 v25, vcc, v15, v10, vcc
	v_lshlrev_b64 v[9:10], 3, v[16:17]
	v_mov_b32_e32 v15, v23
	v_add_co_u32_e32 v9, vcc, v24, v9
	v_add_u16_e32 v24, 0x4a6, v0
	v_addc_co_u32_e32 v10, vcc, v25, v10, vcc
	v_mul_u32_u24_e32 v25, 0x717, v24
	v_mad_u64_u32 v[15:16], s[10:11], s21, v60, v[15:16]
	v_lshrrev_b32_e32 v61, 19, v25
	v_mul_lo_u16_e32 v25, 0x121, v61
	v_sub_u16_e32 v62, v24, v25
	v_mad_u64_u32 v[24:25], s[10:11], s20, v62, 0
	v_mov_b32_e32 v23, v15
	v_lshlrev_b64 v[22:23], 3, v[22:23]
	v_mov_b32_e32 v15, s1
	v_add_co_u32_e32 v26, vcc, s0, v22
	v_mov_b32_e32 v22, v25
	v_addc_co_u32_e32 v27, vcc, v15, v23, vcc
	v_mad_u64_u32 v[22:23], s[10:11], s21, v62, v[22:23]
	v_mul_lo_u32 v16, s22, v59
	global_load_dwordx2 v[9:10], v[9:10], off
	v_mov_b32_e32 v25, v22
	v_lshlrev_b64 v[22:23], 3, v[24:25]
	v_add_u16_e32 v24, 0x51d, v0
	v_mul_u32_u24_e32 v25, 0x717, v24
	v_lshrrev_b32_e32 v63, 19, v25
	v_mul_lo_u16_e32 v25, 0x121, v63
	v_sub_u16_e32 v64, v24, v25
	v_lshlrev_b64 v[15:16], 3, v[16:17]
	v_mad_u64_u32 v[24:25], s[10:11], s20, v64, 0
	v_add_co_u32_e32 v26, vcc, v26, v15
	v_addc_co_u32_e32 v27, vcc, v27, v16, vcc
	v_mov_b32_e32 v15, s1
	v_add_co_u32_e32 v28, vcc, s0, v22
	v_mov_b32_e32 v22, v25
	v_addc_co_u32_e32 v29, vcc, v15, v23, vcc
	v_mad_u64_u32 v[22:23], s[10:11], s21, v64, v[22:23]
	v_mul_lo_u32 v16, s22, v61
	global_load_dwordx2 v[1:2], v[1:2], off
	v_mov_b32_e32 v25, v22
	global_load_dwordx2 v[3:4], v[3:4], off
	v_lshlrev_b64 v[22:23], 3, v[24:25]
	global_load_dwordx2 v[5:6], v[5:6], off
	v_add_u16_e32 v24, 0x594, v0
	global_load_dwordx2 v[7:8], v[7:8], off
	v_mul_u32_u24_e32 v25, 0x717, v24
	v_lshrrev_b32_e32 v65, 19, v25
	v_mul_lo_u16_e32 v25, 0x121, v65
	v_sub_u16_e32 v66, v24, v25
	v_lshlrev_b64 v[15:16], 3, v[16:17]
	v_mad_u64_u32 v[24:25], s[10:11], s20, v66, 0
	v_add_co_u32_e32 v28, vcc, v28, v15
	v_addc_co_u32_e32 v29, vcc, v29, v16, vcc
	v_mov_b32_e32 v15, s1
	v_add_co_u32_e32 v30, vcc, s0, v22
	v_mov_b32_e32 v22, v25
	v_addc_co_u32_e32 v31, vcc, v15, v23, vcc
	v_mad_u64_u32 v[22:23], s[10:11], s21, v66, v[22:23]
	v_mul_lo_u32 v16, s22, v63
	s_mov_b32 s14, 0x3ee437d1
	v_mov_b32_e32 v25, v22
	v_lshlrev_b64 v[22:23], 3, v[24:25]
	v_add_u16_e32 v24, 0x60b, v0
	v_mul_u32_u24_e32 v25, 0x717, v24
	v_lshrrev_b32_e32 v67, 19, v25
	v_mul_lo_u16_e32 v25, 0x121, v67
	v_sub_u16_e32 v68, v24, v25
	v_lshlrev_b64 v[15:16], 3, v[16:17]
	v_mad_u64_u32 v[24:25], s[10:11], s20, v68, 0
	v_add_co_u32_e32 v30, vcc, v30, v15
	v_addc_co_u32_e32 v31, vcc, v31, v16, vcc
	v_mov_b32_e32 v15, s1
	v_add_co_u32_e32 v32, vcc, s0, v22
	v_mov_b32_e32 v22, v25
	v_addc_co_u32_e32 v33, vcc, v15, v23, vcc
	v_mad_u64_u32 v[22:23], s[10:11], s21, v68, v[22:23]
	v_mul_lo_u32 v16, s22, v65
	s_mov_b32 s15, 0xbf1a4643
	v_mov_b32_e32 v25, v22
	v_lshlrev_b64 v[22:23], 3, v[24:25]
	v_add_u16_e32 v24, 0x682, v0
	v_mul_u32_u24_e32 v25, 0x717, v24
	v_lshrrev_b32_e32 v69, 19, v25
	v_mul_lo_u16_e32 v25, 0x121, v69
	v_sub_u16_e32 v70, v24, v25
	v_lshlrev_b64 v[15:16], 3, v[16:17]
	v_mad_u64_u32 v[24:25], s[10:11], s20, v70, 0
	v_add_co_u32_e32 v32, vcc, v32, v15
	v_addc_co_u32_e32 v33, vcc, v33, v16, vcc
	v_mov_b32_e32 v15, s1
	v_add_co_u32_e32 v34, vcc, s0, v22
	v_mov_b32_e32 v22, v25
	v_addc_co_u32_e32 v35, vcc, v15, v23, vcc
	v_mad_u64_u32 v[22:23], s[10:11], s21, v70, v[22:23]
	v_mul_lo_u32 v16, s22, v67
	s_movk_i32 s12, 0x88
	v_mov_b32_e32 v25, v22
	v_lshlrev_b64 v[22:23], 3, v[24:25]
	v_add_u16_e32 v24, 0x6f9, v0
	v_mul_u32_u24_e32 v25, 0x717, v24
	v_lshrrev_b32_e32 v71, 19, v25
	v_mul_lo_u16_e32 v25, 0x121, v71
	v_sub_u16_e32 v72, v24, v25
	v_lshlrev_b64 v[15:16], 3, v[16:17]
	v_mad_u64_u32 v[24:25], s[10:11], s20, v72, 0
	v_add_co_u32_e32 v34, vcc, v34, v15
	v_addc_co_u32_e32 v35, vcc, v35, v16, vcc
	v_mul_lo_u32 v16, s22, v69
	v_mov_b32_e32 v15, s1
	v_add_co_u32_e32 v36, vcc, s0, v22
	v_mov_b32_e32 v22, v25
	v_addc_co_u32_e32 v37, vcc, v15, v23, vcc
	v_mad_u64_u32 v[22:23], s[10:11], s21, v72, v[22:23]
	v_lshlrev_b64 v[15:16], 3, v[16:17]
	s_mul_i32 s6, s6, s23
	v_mov_b32_e32 v25, v22
	v_add_co_u32_e32 v36, vcc, v36, v15
	v_lshlrev_b64 v[22:23], 3, v[24:25]
	v_addc_co_u32_e32 v37, vcc, v37, v16, vcc
	v_mov_b32_e32 v15, s1
	v_add_co_u32_e32 v38, vcc, s0, v22
	v_addc_co_u32_e32 v39, vcc, v15, v23, vcc
	global_load_dwordx2 v[22:23], v[26:27], off
	v_add_u16_e32 v24, 0x770, v0
	global_load_dwordx2 v[26:27], v[28:29], off
	v_mul_u32_u24_e32 v25, 0x717, v24
	v_lshrrev_b32_e32 v73, 19, v25
	v_mul_lo_u16_e32 v25, 0x121, v73
	v_sub_u16_e32 v74, v24, v25
	v_mad_u64_u32 v[24:25], s[10:11], s20, v74, 0
	v_mul_lo_u32 v16, s22, v71
	s_mov_b32 s20, 0xbf59a7d5
	v_lshlrev_b64 v[15:16], 3, v[16:17]
	v_add_co_u32_e32 v38, vcc, v38, v15
	v_addc_co_u32_e32 v39, vcc, v39, v16, vcc
	v_mul_lo_u32 v16, s22, v73
	v_mov_b32_e32 v15, s1
	s_mov_b32 s1, 0x3f6eb680
	s_waitcnt vmcnt(0)
	v_mad_u64_u32 v[28:29], s[10:11], s21, v74, v[25:26]
	global_load_dwordx2 v[29:30], v[30:31], off
	s_mov_b32 s10, 0x3dbcf732
	v_mov_b32_e32 v25, v28
	global_load_dwordx2 v[31:32], v[32:33], off
	v_lshlrev_b64 v[24:25], 3, v[24:25]
	global_load_dwordx2 v[40:41], v[34:35], off
	global_load_dwordx2 v[42:43], v[36:37], off
	v_add_co_u32_e32 v28, vcc, s0, v24
	v_addc_co_u32_e32 v33, vcc, v15, v25, vcc
	v_lshlrev_b64 v[15:16], 3, v[16:17]
	global_load_dwordx2 v[24:25], v[38:39], off
	v_add_co_u32_e32 v15, vcc, v28, v15
	v_addc_co_u32_e32 v16, vcc, v33, v16, vcc
	global_load_dwordx2 v[15:16], v[15:16], off
	v_lshl_add_u32 v28, v0, 3, 0
	ds_write_b64 v28, v[11:12]
	v_lshl_add_u32 v11, v44, 3, 0
	ds_write_b64 v11, v[13:14]
	v_mul_u32_u24_e32 v11, 0x910, v45
	v_lshlrev_b32_e32 v12, 3, v46
	v_mul_u32_u24_e32 v13, 0xf10, v0
	v_add3_u32 v11, 0, v11, v12
	s_mov_b32 s0, 0x24924925
	v_add_u32_sdwa v14, s4, v13 dst_sel:DWORD dst_unused:UNUSED_PAD src0_sel:DWORD src1_sel:WORD_1
	ds_write_b64 v11, v[18:19]
	v_mul_hi_u32 v18, v14, s0
	v_mul_u32_u24_e32 v11, 0x910, v47
	v_lshlrev_b32_e32 v12, 3, v48
	v_add3_u32 v11, 0, v11, v12
	v_sub_u32_e32 v12, v14, v18
	v_lshrrev_b32_e32 v12, 1, v12
	ds_write_b64 v11, v[20:21]
	v_mul_u32_u24_e32 v11, 0x910, v49
	v_add_u32_e32 v12, v12, v18
	v_lshlrev_b32_e32 v18, 3, v50
	v_add3_u32 v11, 0, v11, v18
	ds_write_b64 v11, v[1:2]
	v_mul_u32_u24_e32 v2, 0x910, v51
	v_lshlrev_b32_e32 v11, 3, v52
	v_add3_u32 v2, 0, v2, v11
	ds_write_b64 v2, v[3:4]
	v_mul_u32_u24_e32 v2, 0x910, v53
	;; [unrolled: 4-line block ×7, first 2 shown]
	v_lshlrev_b32_e32 v3, 3, v64
	v_add3_u32 v2, 0, v2, v3
	v_lshlrev_b32_e32 v3, 3, v66
	v_lshrrev_b32_e32 v12, 2, v12
	v_mul_lo_u32 v12, v12, 7
	s_mov_b32 s0, 0x3f3d2fb0
	s_mov_b32 s11, 0xbe8c1d8e
	;; [unrolled: 1-line block ×3, first 2 shown]
	v_sub_u32_e32 v1, v14, v12
	v_mul_u32_u24_e32 v1, 0x122, v1
	v_lshlrev_b32_e32 v1, 3, v1
	s_mul_i32 s4, s16, s4
	s_waitcnt vmcnt(5)
	ds_write_b64 v2, v[29:30]
	v_mul_u32_u24_e32 v2, 0x910, v65
	v_add3_u32 v2, 0, v2, v3
	s_waitcnt vmcnt(4)
	ds_write_b64 v2, v[31:32]
	v_mul_u32_u24_e32 v2, 0x910, v67
	v_lshlrev_b32_e32 v3, 3, v68
	v_add3_u32 v2, 0, v2, v3
	s_waitcnt vmcnt(3)
	ds_write_b64 v2, v[40:41]
	v_mul_u32_u24_e32 v2, 0x910, v69
	v_lshlrev_b32_e32 v3, 3, v70
	;; [unrolled: 5-line block ×4, first 2 shown]
	v_add3_u32 v2, 0, v2, v3
	s_waitcnt vmcnt(0)
	ds_write_b64 v2, v[15:16]
	v_mov_b32_e32 v2, 17
	v_mul_lo_u16_sdwa v2, v13, v2 dst_sel:DWORD dst_unused:UNUSED_PAD src0_sel:WORD_1 src1_sel:DWORD
	v_sub_u16_e32 v28, v0, v2
	v_add_u32_e32 v29, 0, v1
	v_lshlrev_b32_e32 v2, 3, v28
	v_add_u32_e32 v27, v29, v2
	s_waitcnt lgkmcnt(0)
	s_barrier
	ds_read_b64 v[20:21], v27
	v_add3_u32 v26, 0, v2, v1
	ds_read2_b64 v[22:25], v26 offset0:17 offset1:34
	ds_read2_b64 v[50:53], v26 offset0:51 offset1:68
	ds_read2_b64 v[9:12], v26 offset0:85 offset1:102
	ds_read2_b64 v[1:4], v26 offset0:119 offset1:136
	ds_read2_b64 v[5:8], v26 offset0:153 offset1:170
	ds_read2_b64 v[13:16], v26 offset0:187 offset1:204
	ds_read2_b64 v[54:57], v26 offset0:221 offset1:238
	v_add_u32_e32 v18, 0x400, v26
	ds_read2_b64 v[31:34], v18 offset0:127 offset1:144
	s_waitcnt lgkmcnt(7)
	v_add_f32_e32 v19, v21, v23
	v_add_f32_e32 v18, v20, v22
	v_add_f32_e32 v19, v19, v25
	v_add_f32_e32 v18, v18, v24
	s_waitcnt lgkmcnt(6)
	v_add_f32_e32 v19, v19, v51
	v_add_f32_e32 v18, v18, v50
	v_add_f32_e32 v19, v19, v53
	v_add_f32_e32 v18, v18, v52
	;; [unrolled: 5-line block ×6, first 2 shown]
	s_waitcnt lgkmcnt(1)
	v_add_f32_e32 v19, v19, v55
	v_add_f32_e32 v18, v18, v54
	;; [unrolled: 1-line block ×3, first 2 shown]
	s_waitcnt lgkmcnt(0)
	v_sub_f32_e32 v49, v23, v34
	v_add_f32_e32 v18, v18, v56
	v_add_f32_e32 v19, v19, v32
	;; [unrolled: 1-line block ×3, first 2 shown]
	v_sub_f32_e32 v39, v22, v33
	v_mul_f32_e32 v22, 0xbeb8f4ab, v49
	v_add_f32_e32 v18, v18, v31
	v_add_f32_e32 v19, v19, v34
	;; [unrolled: 1-line block ×3, first 2 shown]
	v_mov_b32_e32 v42, v22
	v_fma_f32 v43, v47, s1, -v22
	v_mul_f32_e32 v58, 0xbf2c7751, v49
	v_add_f32_e32 v22, v31, v24
	v_add_f32_e32 v30, v32, v25
	v_sub_f32_e32 v23, v24, v31
	v_sub_f32_e32 v34, v25, v32
	v_add_f32_e32 v24, v56, v50
	v_sub_f32_e32 v25, v50, v56
	v_add_f32_e32 v31, v54, v52
	;; [unrolled: 2-line block ×4, first 2 shown]
	v_sub_f32_e32 v46, v11, v13
	v_mul_f32_e32 v13, 0xbf65296c, v49
	v_mul_f32_e32 v15, 0xbf7ee86f, v49
	;; [unrolled: 1-line block ×6, first 2 shown]
	v_add_f32_e32 v18, v18, v33
	v_add_f32_e32 v33, v57, v51
	v_sub_f32_e32 v37, v51, v57
	v_add_f32_e32 v36, v55, v53
	v_sub_f32_e32 v40, v53, v55
	;; [unrolled: 2-line block ×4, first 2 shown]
	v_mov_b32_e32 v11, v58
	v_mov_b32_e32 v14, v13
	;; [unrolled: 1-line block ×7, first 2 shown]
	v_fmac_f32_e32 v42, 0x3f6eb680, v47
	v_fmac_f32_e32 v11, 0x3f3d2fb0, v47
	v_fma_f32 v12, v47, s0, -v58
	v_fmac_f32_e32 v14, 0x3ee437d1, v47
	v_fma_f32 v13, v47, s14, -v13
	;; [unrolled: 2-line block ×7, first 2 shown]
	v_mul_f32_e32 v49, 0x3f6eb680, v41
	v_mul_f32_e32 v58, 0x3f3d2fb0, v41
	;; [unrolled: 1-line block ×8, first 2 shown]
	v_mov_b32_e32 v57, v49
	v_mov_b32_e32 v59, v58
	v_mov_b32_e32 v61, v60
	v_mov_b32_e32 v63, v62
	v_mov_b32_e32 v65, v64
	v_mov_b32_e32 v67, v66
	v_mov_b32_e32 v69, v68
	v_mov_b32_e32 v70, v41
	v_fmac_f32_e32 v57, 0x3eb8f4ab, v39
	v_fmac_f32_e32 v49, 0xbeb8f4ab, v39
	v_fmac_f32_e32 v59, 0x3f2c7751, v39
	v_fmac_f32_e32 v58, 0xbf2c7751, v39
	v_fmac_f32_e32 v61, 0x3f65296c, v39
	v_fmac_f32_e32 v60, 0xbf65296c, v39
	v_fmac_f32_e32 v63, 0x3f7ee86f, v39
	v_fmac_f32_e32 v62, 0xbf7ee86f, v39
	v_fmac_f32_e32 v65, 0x3f763a35, v39
	v_fmac_f32_e32 v64, 0xbf763a35, v39
	v_fmac_f32_e32 v67, 0x3f4c4adb, v39
	v_fmac_f32_e32 v66, 0xbf4c4adb, v39
	v_fmac_f32_e32 v69, 0x3f06c442, v39
	v_fmac_f32_e32 v68, 0xbf06c442, v39
	v_fmac_f32_e32 v70, 0x3e3c28d5, v39
	v_fmac_f32_e32 v41, 0xbe3c28d5, v39
	v_add_f32_e32 v39, v20, v42
	v_add_f32_e32 v42, v21, v57
	;; [unrolled: 1-line block ×17, first 2 shown]
	v_mul_f32_e32 v41, 0xbf2c7751, v34
	v_add_f32_e32 v43, v20, v43
	v_add_f32_e32 v11, v20, v11
	;; [unrolled: 1-line block ×15, first 2 shown]
	v_mov_b32_e32 v47, v41
	v_fmac_f32_e32 v47, 0x3f3d2fb0, v22
	v_add_f32_e32 v39, v47, v39
	v_mul_f32_e32 v47, 0x3f3d2fb0, v30
	v_mov_b32_e32 v70, v47
	v_fma_f32 v41, v22, s0, -v41
	v_fmac_f32_e32 v47, 0xbf2c7751, v23
	v_add_f32_e32 v41, v41, v43
	v_add_f32_e32 v43, v47, v49
	v_mul_f32_e32 v47, 0xbf7ee86f, v34
	v_mov_b32_e32 v49, v47
	v_fmac_f32_e32 v49, 0x3dbcf732, v22
	v_fmac_f32_e32 v70, 0x3f2c7751, v23
	v_add_f32_e32 v11, v49, v11
	v_mul_f32_e32 v49, 0x3dbcf732, v30
	v_add_f32_e32 v42, v70, v42
	v_mov_b32_e32 v70, v49
	v_fma_f32 v47, v22, s10, -v47
	v_fmac_f32_e32 v49, 0xbf7ee86f, v23
	v_add_f32_e32 v12, v47, v12
	v_add_f32_e32 v47, v49, v58
	v_mul_f32_e32 v49, 0xbf4c4adb, v34
	v_mov_b32_e32 v58, v49
	v_fmac_f32_e32 v58, 0xbf1a4643, v22
	v_fmac_f32_e32 v70, 0x3f7ee86f, v23
	v_add_f32_e32 v14, v58, v14
	v_mul_f32_e32 v58, 0xbf1a4643, v30
	v_add_f32_e32 v57, v70, v57
	;; [unrolled: 12-line block ×6, first 2 shown]
	v_mov_b32_e32 v70, v66
	v_fma_f32 v64, v22, s14, -v64
	v_fmac_f32_e32 v66, 0x3f65296c, v23
	v_mul_f32_e32 v34, 0x3eb8f4ab, v34
	v_add_f32_e32 v54, v64, v54
	v_add_f32_e32 v64, v66, v68
	v_mov_b32_e32 v66, v34
	v_fmac_f32_e32 v66, 0x3f6eb680, v22
	v_mul_f32_e32 v30, 0x3f6eb680, v30
	v_fma_f32 v22, v22, s1, -v34
	v_add_f32_e32 v56, v66, v56
	v_mov_b32_e32 v66, v30
	v_add_f32_e32 v20, v22, v20
	v_mul_f32_e32 v22, 0xbf65296c, v37
	v_fmac_f32_e32 v70, 0xbf65296c, v23
	v_fmac_f32_e32 v66, 0xbeb8f4ab, v23
	;; [unrolled: 1-line block ×3, first 2 shown]
	v_mov_b32_e32 v23, v22
	v_fmac_f32_e32 v23, 0x3ee437d1, v24
	v_add_f32_e32 v23, v23, v39
	v_fma_f32 v22, v24, s14, -v22
	v_mul_f32_e32 v39, 0xbf4c4adb, v37
	v_add_f32_e32 v21, v30, v21
	v_mul_f32_e32 v30, 0x3ee437d1, v33
	v_add_f32_e32 v22, v22, v41
	v_mov_b32_e32 v41, v39
	v_mov_b32_e32 v34, v30
	v_fmac_f32_e32 v41, 0xbf1a4643, v24
	v_fmac_f32_e32 v34, 0x3f65296c, v25
	v_add_f32_e32 v11, v41, v11
	v_mul_f32_e32 v41, 0xbf1a4643, v33
	v_add_f32_e32 v34, v34, v42
	v_mov_b32_e32 v42, v41
	v_fma_f32 v39, v24, s15, -v39
	v_fmac_f32_e32 v41, 0xbf4c4adb, v25
	v_fmac_f32_e32 v30, 0xbf65296c, v25
	v_add_f32_e32 v12, v39, v12
	v_add_f32_e32 v39, v41, v47
	v_mul_f32_e32 v41, 0x3e3c28d5, v37
	v_add_f32_e32 v30, v30, v43
	v_mov_b32_e32 v43, v41
	v_fmac_f32_e32 v43, 0xbf7ba420, v24
	v_add_f32_e32 v14, v43, v14
	v_mul_f32_e32 v43, 0xbf7ba420, v33
	v_mov_b32_e32 v47, v43
	v_fma_f32 v41, v24, s21, -v41
	v_fmac_f32_e32 v43, 0x3e3c28d5, v25
	v_add_f32_e32 v13, v41, v13
	v_add_f32_e32 v41, v43, v49
	v_mul_f32_e32 v43, 0x3f763a35, v37
	v_mov_b32_e32 v49, v43
	v_fmac_f32_e32 v49, 0xbe8c1d8e, v24
	v_fmac_f32_e32 v42, 0x3f4c4adb, v25
	v_add_f32_e32 v16, v49, v16
	v_mul_f32_e32 v49, 0xbe8c1d8e, v33
	v_add_f32_e32 v42, v42, v57
	v_mov_b32_e32 v57, v49
	v_fma_f32 v43, v24, s11, -v43
	v_fmac_f32_e32 v49, 0x3f763a35, v25
	v_add_f32_e32 v15, v43, v15
	v_add_f32_e32 v43, v49, v58
	v_mul_f32_e32 v49, 0x3f2c7751, v37
	v_mov_b32_e32 v58, v49
	v_fmac_f32_e32 v58, 0x3f3d2fb0, v24
	v_fmac_f32_e32 v47, 0xbe3c28d5, v25
	v_add_f32_e32 v51, v58, v51
	v_mul_f32_e32 v58, 0x3f3d2fb0, v33
	v_add_f32_e32 v47, v47, v59
	;; [unrolled: 12-line block ×4, first 2 shown]
	v_mov_b32_e32 v63, v62
	v_fma_f32 v60, v24, s10, -v60
	v_fmac_f32_e32 v62, 0xbf7ee86f, v25
	v_mul_f32_e32 v37, 0xbf06c442, v37
	v_add_f32_e32 v54, v60, v54
	v_add_f32_e32 v60, v62, v64
	v_mov_b32_e32 v62, v37
	v_fmac_f32_e32 v62, 0xbf59a7d5, v24
	v_mul_f32_e32 v33, 0xbf59a7d5, v33
	v_fma_f32 v24, v24, s20, -v37
	v_add_f32_e32 v56, v62, v56
	v_mov_b32_e32 v62, v33
	v_add_f32_e32 v20, v24, v20
	v_mul_f32_e32 v24, 0xbf7ee86f, v40
	v_fmac_f32_e32 v61, 0x3eb8f4ab, v25
	v_fmac_f32_e32 v63, 0x3f7ee86f, v25
	;; [unrolled: 1-line block ×4, first 2 shown]
	v_mov_b32_e32 v25, v24
	v_fmac_f32_e32 v25, 0x3dbcf732, v31
	v_add_f32_e32 v23, v25, v23
	v_mul_f32_e32 v25, 0x3dbcf732, v36
	v_add_f32_e32 v21, v33, v21
	v_mov_b32_e32 v33, v25
	v_fma_f32 v24, v31, s10, -v24
	v_fmac_f32_e32 v25, 0xbf7ee86f, v32
	v_add_f32_e32 v22, v24, v22
	v_add_f32_e32 v24, v25, v30
	v_mul_f32_e32 v25, 0xbe3c28d5, v40
	v_mov_b32_e32 v30, v25
	v_fmac_f32_e32 v30, 0xbf7ba420, v31
	v_fmac_f32_e32 v33, 0x3f7ee86f, v32
	v_add_f32_e32 v11, v30, v11
	v_mul_f32_e32 v30, 0xbf7ba420, v36
	v_add_f32_e32 v33, v33, v34
	v_mov_b32_e32 v34, v30
	v_fma_f32 v25, v31, s21, -v25
	v_fmac_f32_e32 v30, 0xbe3c28d5, v32
	v_add_f32_e32 v12, v25, v12
	v_add_f32_e32 v25, v30, v39
	v_mul_f32_e32 v30, 0x3f763a35, v40
	v_mov_b32_e32 v37, v30
	v_fmac_f32_e32 v37, 0xbe8c1d8e, v31
	v_add_f32_e32 v14, v37, v14
	v_mul_f32_e32 v37, 0xbe8c1d8e, v36
	v_mov_b32_e32 v39, v37
	v_fma_f32 v30, v31, s11, -v30
	v_fmac_f32_e32 v37, 0x3f763a35, v32
	v_add_f32_e32 v13, v30, v13
	v_add_f32_e32 v30, v37, v41
	v_mul_f32_e32 v37, 0x3eb8f4ab, v40
	v_mov_b32_e32 v41, v37
	v_fmac_f32_e32 v41, 0x3f6eb680, v31
	v_fmac_f32_e32 v34, 0x3e3c28d5, v32
	v_add_f32_e32 v16, v41, v16
	v_mul_f32_e32 v41, 0x3f6eb680, v36
	v_add_f32_e32 v34, v34, v42
	v_mov_b32_e32 v42, v41
	v_fma_f32 v37, v31, s1, -v37
	v_fmac_f32_e32 v41, 0x3eb8f4ab, v32
	v_add_f32_e32 v15, v37, v15
	v_add_f32_e32 v37, v41, v43
	v_mul_f32_e32 v41, 0xbf65296c, v40
	v_fmac_f32_e32 v39, 0xbf763a35, v32
	v_mov_b32_e32 v43, v41
	v_add_f32_e32 v39, v39, v47
	v_fmac_f32_e32 v43, 0x3ee437d1, v31
	v_mul_f32_e32 v47, 0x3ee437d1, v36
	v_fma_f32 v41, v31, s14, -v41
	v_add_f32_e32 v43, v43, v51
	v_mov_b32_e32 v51, v47
	v_add_f32_e32 v41, v41, v49
	v_fmac_f32_e32 v47, 0xbf65296c, v32
	v_mul_f32_e32 v49, 0xbf06c442, v40
	v_add_f32_e32 v47, v47, v50
	v_mov_b32_e32 v50, v49
	v_fmac_f32_e32 v50, 0xbf59a7d5, v31
	v_fmac_f32_e32 v42, 0xbeb8f4ab, v32
	v_add_f32_e32 v50, v50, v53
	v_mul_f32_e32 v53, 0xbf59a7d5, v36
	v_add_f32_e32 v42, v42, v57
	v_mov_b32_e32 v57, v53
	v_fma_f32 v49, v31, s20, -v49
	v_fmac_f32_e32 v53, 0xbf06c442, v32
	v_add_f32_e32 v49, v49, v52
	v_add_f32_e32 v52, v53, v58
	v_mul_f32_e32 v53, 0x3f4c4adb, v40
	v_mov_b32_e32 v58, v53
	v_fmac_f32_e32 v58, 0xbf1a4643, v31
	v_fmac_f32_e32 v51, 0x3f65296c, v32
	v_add_f32_e32 v55, v58, v55
	v_mul_f32_e32 v58, 0xbf1a4643, v36
	v_add_f32_e32 v51, v51, v59
	v_mov_b32_e32 v59, v58
	v_fma_f32 v53, v31, s15, -v53
	v_fmac_f32_e32 v58, 0x3f4c4adb, v32
	v_mul_f32_e32 v40, 0x3f2c7751, v40
	v_add_f32_e32 v53, v53, v54
	v_add_f32_e32 v54, v58, v60
	v_mov_b32_e32 v58, v40
	v_fmac_f32_e32 v58, 0x3f3d2fb0, v31
	v_mul_f32_e32 v36, 0x3f3d2fb0, v36
	v_fma_f32 v31, v31, s0, -v40
	v_add_f32_e32 v56, v58, v56
	v_mov_b32_e32 v58, v36
	v_add_f32_e32 v20, v31, v20
	v_mul_f32_e32 v31, 0xbf763a35, v10
	v_fmac_f32_e32 v57, 0x3f06c442, v32
	v_fmac_f32_e32 v59, 0xbf4c4adb, v32
	;; [unrolled: 1-line block ×4, first 2 shown]
	v_mov_b32_e32 v32, v31
	v_fmac_f32_e32 v32, 0xbe8c1d8e, v35
	v_add_f32_e32 v23, v32, v23
	v_mul_f32_e32 v32, 0xbe8c1d8e, v38
	v_fma_f32 v31, v35, s11, -v31
	v_add_f32_e32 v21, v36, v21
	v_mov_b32_e32 v36, v32
	v_add_f32_e32 v22, v31, v22
	v_fmac_f32_e32 v32, 0xbf763a35, v9
	v_mul_f32_e32 v31, 0x3f06c442, v10
	v_add_f32_e32 v24, v32, v24
	v_mov_b32_e32 v32, v31
	v_fmac_f32_e32 v32, 0xbf59a7d5, v35
	v_fmac_f32_e32 v36, 0x3f763a35, v9
	v_add_f32_e32 v32, v32, v11
	v_mul_f32_e32 v11, 0xbf59a7d5, v38
	v_add_f32_e32 v33, v36, v33
	v_mov_b32_e32 v36, v11
	v_fmac_f32_e32 v11, 0x3f06c442, v9
	v_fma_f32 v31, v35, s20, -v31
	v_add_f32_e32 v25, v11, v25
	v_mul_f32_e32 v11, 0x3f2c7751, v10
	v_add_f32_e32 v31, v31, v12
	v_mov_b32_e32 v12, v11
	v_fmac_f32_e32 v36, 0xbf06c442, v9
	v_fmac_f32_e32 v12, 0x3f3d2fb0, v35
	v_add_f32_e32 v34, v36, v34
	v_add_f32_e32 v36, v12, v14
	v_mul_f32_e32 v12, 0x3f3d2fb0, v38
	v_fma_f32 v11, v35, s0, -v11
	v_mov_b32_e32 v14, v12
	v_add_f32_e32 v40, v11, v13
	v_fmac_f32_e32 v12, 0x3f2c7751, v9
	v_mul_f32_e32 v11, 0xbf65296c, v10
	v_add_f32_e32 v30, v12, v30
	v_mov_b32_e32 v12, v11
	v_fmac_f32_e32 v12, 0x3ee437d1, v35
	v_add_f32_e32 v61, v61, v65
	v_add_f32_e32 v60, v12, v16
	v_mul_f32_e32 v12, 0x3ee437d1, v38
	v_fma_f32 v11, v35, s14, -v11
	v_add_f32_e32 v57, v57, v61
	v_mov_b32_e32 v13, v12
	v_add_f32_e32 v61, v11, v15
	v_fmac_f32_e32 v12, 0xbf65296c, v9
	v_mul_f32_e32 v11, 0xbe3c28d5, v10
	v_add_f32_e32 v37, v12, v37
	v_mov_b32_e32 v12, v11
	v_fmac_f32_e32 v12, 0xbf7ba420, v35
	v_add_f32_e32 v66, v66, v69
	v_fmac_f32_e32 v13, 0x3f65296c, v9
	v_add_f32_e32 v43, v12, v43
	v_mul_f32_e32 v12, 0xbf7ba420, v38
	v_fma_f32 v11, v35, s21, -v11
	v_add_f32_e32 v62, v62, v66
	v_add_f32_e32 v42, v13, v42
	v_mov_b32_e32 v13, v12
	v_add_f32_e32 v41, v11, v41
	v_fmac_f32_e32 v12, 0xbe3c28d5, v9
	v_mul_f32_e32 v11, 0x3f7ee86f, v10
	v_add_f32_e32 v58, v58, v62
	v_add_f32_e32 v62, v12, v47
	v_mov_b32_e32 v12, v11
	v_fmac_f32_e32 v12, 0x3dbcf732, v35
	v_fmac_f32_e32 v13, 0x3e3c28d5, v9
	v_add_f32_e32 v50, v12, v50
	v_mul_f32_e32 v12, 0x3dbcf732, v38
	v_fma_f32 v11, v35, s10, -v11
	v_add_f32_e32 v51, v13, v51
	v_mov_b32_e32 v13, v12
	v_add_f32_e32 v49, v11, v49
	v_fmac_f32_e32 v12, 0x3f7ee86f, v9
	v_mul_f32_e32 v11, 0xbeb8f4ab, v10
	v_add_f32_e32 v52, v12, v52
	v_mov_b32_e32 v12, v11
	v_fma_f32 v11, v35, s1, -v11
	v_mul_f32_e32 v10, 0xbf4c4adb, v10
	v_fmac_f32_e32 v12, 0x3f6eb680, v35
	v_add_f32_e32 v53, v11, v53
	v_mov_b32_e32 v11, v10
	v_add_f32_e32 v67, v70, v67
	v_fmac_f32_e32 v13, 0xbf7ee86f, v9
	v_add_f32_e32 v55, v12, v55
	v_mul_f32_e32 v12, 0x3f6eb680, v38
	v_fmac_f32_e32 v11, 0xbf1a4643, v35
	v_add_f32_e32 v63, v63, v67
	v_add_f32_e32 v57, v13, v57
	v_mov_b32_e32 v13, v12
	v_fmac_f32_e32 v12, 0xbeb8f4ab, v9
	v_add_f32_e32 v56, v11, v56
	v_mul_f32_e32 v11, 0xbf1a4643, v38
	v_fma_f32 v10, v35, s15, -v10
	v_add_f32_e32 v59, v59, v63
	v_add_f32_e32 v54, v12, v54
	v_mov_b32_e32 v12, v11
	v_add_f32_e32 v63, v10, v20
	v_mul_f32_e32 v10, 0xbf4c4adb, v48
	v_fmac_f32_e32 v14, 0xbf2c7751, v9
	v_fmac_f32_e32 v13, 0x3eb8f4ab, v9
	;; [unrolled: 1-line block ×4, first 2 shown]
	v_mov_b32_e32 v9, v10
	v_fma_f32 v10, v45, s15, -v10
	v_add_f32_e32 v10, v10, v22
	v_mul_f32_e32 v22, 0x3f6eb680, v44
	v_add_f32_e32 v64, v11, v21
	v_fmac_f32_e32 v9, 0xbf1a4643, v45
	v_mul_f32_e32 v11, 0xbf1a4643, v44
	v_mov_b32_e32 v20, v22
	v_fmac_f32_e32 v22, 0xbeb8f4ab, v46
	v_add_f32_e32 v47, v9, v23
	v_mov_b32_e32 v9, v11
	v_fmac_f32_e32 v11, 0xbf4c4adb, v46
	v_add_f32_e32 v22, v22, v30
	v_mul_f32_e32 v30, 0xbf59a7d5, v44
	v_add_f32_e32 v11, v11, v24
	v_mul_f32_e32 v15, 0xbe8c1d8e, v44
	v_mov_b32_e32 v24, v30
	v_fmac_f32_e32 v30, 0xbf06c442, v46
	v_add_f32_e32 v39, v14, v39
	v_add_f32_e32 v59, v13, v59
	v_fmac_f32_e32 v9, 0x3f4c4adb, v46
	v_mul_f32_e32 v14, 0x3f763a35, v48
	v_mov_b32_e32 v13, v15
	v_mul_f32_e32 v21, 0xbeb8f4ab, v48
	v_add_f32_e32 v30, v30, v37
	v_mul_f32_e32 v37, 0xbf2c7751, v48
	v_add_f32_e32 v58, v12, v58
	v_add_f32_e32 v9, v9, v33
	v_mov_b32_e32 v12, v14
	v_fmac_f32_e32 v13, 0xbf763a35, v46
	v_fma_f32 v14, v45, s11, -v14
	v_mov_b32_e32 v16, v21
	v_fmac_f32_e32 v24, 0x3f06c442, v46
	v_mul_f32_e32 v33, 0x3f7ee86f, v48
	v_mov_b32_e32 v35, v37
	v_fma_f32 v37, v45, s0, -v37
	v_fmac_f32_e32 v12, 0xbe8c1d8e, v45
	v_add_f32_e32 v13, v13, v34
	v_add_f32_e32 v14, v14, v31
	v_fmac_f32_e32 v15, 0x3f763a35, v46
	v_fmac_f32_e32 v16, 0x3f6eb680, v45
	v_fma_f32 v21, v45, s1, -v21
	v_add_f32_e32 v24, v24, v42
	v_mov_b32_e32 v31, v33
	v_mul_f32_e32 v34, 0x3dbcf732, v44
	v_fma_f32 v33, v45, s10, -v33
	v_mul_f32_e32 v38, 0x3f3d2fb0, v44
	v_add_f32_e32 v37, v37, v49
	v_mul_f32_e32 v42, 0xbf7ba420, v44
	v_mul_f32_e32 v49, 0x3ee437d1, v44
	v_add_f32_e32 v12, v12, v32
	v_add_f32_e32 v15, v15, v25
	;; [unrolled: 1-line block ×3, first 2 shown]
	v_fmac_f32_e32 v20, 0x3eb8f4ab, v46
	v_add_f32_e32 v21, v21, v40
	v_mul_f32_e32 v25, 0xbf06c442, v48
	v_fmac_f32_e32 v31, 0x3dbcf732, v45
	v_mov_b32_e32 v32, v34
	v_add_f32_e32 v33, v33, v41
	v_mov_b32_e32 v36, v38
	v_mul_f32_e32 v41, 0xbe3c28d5, v48
	v_mov_b32_e32 v40, v42
	v_mul_f32_e32 v48, 0x3f65296c, v48
	v_mov_b32_e32 v44, v49
	v_fmac_f32_e32 v49, 0x3f65296c, v46
	v_add_f32_e32 v20, v20, v39
	v_mov_b32_e32 v23, v25
	v_add_f32_e32 v31, v31, v43
	v_fmac_f32_e32 v32, 0xbf7ee86f, v46
	v_fmac_f32_e32 v34, 0x3f7ee86f, v46
	;; [unrolled: 1-line block ×4, first 2 shown]
	v_mov_b32_e32 v39, v41
	v_fmac_f32_e32 v40, 0x3e3c28d5, v46
	v_fmac_f32_e32 v42, 0xbe3c28d5, v46
	v_mov_b32_e32 v43, v48
	v_fmac_f32_e32 v44, 0xbf65296c, v46
	v_add_f32_e32 v46, v49, v64
	v_sub_f32_e32 v49, v2, v8
	v_add_f32_e32 v2, v8, v2
	v_fmac_f32_e32 v23, 0xbf59a7d5, v45
	v_fma_f32 v25, v45, s20, -v25
	v_fmac_f32_e32 v35, 0x3f3d2fb0, v45
	v_fmac_f32_e32 v39, 0xbf7ba420, v45
	v_fma_f32 v41, v45, s21, -v41
	v_fmac_f32_e32 v43, 0x3ee437d1, v45
	v_fma_f32 v45, v45, s14, -v48
	v_add_f32_e32 v48, v7, v1
	v_sub_f32_e32 v1, v1, v7
	v_mul_f32_e32 v7, 0xbf59a7d5, v2
	v_mov_b32_e32 v8, v7
	v_add_f32_e32 v35, v35, v50
	v_mul_f32_e32 v50, 0xbf06c442, v49
	v_fmac_f32_e32 v8, 0x3f06c442, v1
	v_add_f32_e32 v8, v8, v9
	v_fma_f32 v9, v48, s20, -v50
	v_add_f32_e32 v9, v9, v10
	v_fmac_f32_e32 v7, 0xbf06c442, v1
	v_mul_f32_e32 v10, 0x3f65296c, v49
	v_add_f32_e32 v7, v7, v11
	v_mov_b32_e32 v11, v10
	v_fmac_f32_e32 v11, 0x3ee437d1, v48
	v_add_f32_e32 v11, v11, v12
	v_mul_f32_e32 v12, 0x3ee437d1, v2
	v_fma_f32 v10, v48, s14, -v10
	v_add_f32_e32 v32, v32, v51
	v_mov_b32_e32 v51, v50
	v_mov_b32_e32 v50, v12
	v_add_f32_e32 v10, v10, v14
	v_fmac_f32_e32 v12, 0x3f65296c, v1
	v_mul_f32_e32 v14, 0xbf7ee86f, v49
	v_add_f32_e32 v12, v12, v15
	v_mov_b32_e32 v15, v14
	v_fmac_f32_e32 v15, 0x3dbcf732, v48
	v_fmac_f32_e32 v50, 0xbf65296c, v1
	v_add_f32_e32 v15, v15, v16
	v_mul_f32_e32 v16, 0x3dbcf732, v2
	v_fma_f32 v14, v48, s10, -v14
	v_add_f32_e32 v13, v50, v13
	v_mov_b32_e32 v50, v16
	v_add_f32_e32 v14, v14, v21
	v_fmac_f32_e32 v16, 0xbf7ee86f, v1
	v_mul_f32_e32 v21, 0x3f4c4adb, v49
	v_add_f32_e32 v16, v16, v22
	v_mov_b32_e32 v22, v21
	v_add_f32_e32 v23, v23, v60
	v_fmac_f32_e32 v22, 0xbf1a4643, v48
	v_add_f32_e32 v25, v25, v61
	v_fmac_f32_e32 v50, 0x3f7ee86f, v1
	v_add_f32_e32 v22, v22, v23
	v_mul_f32_e32 v23, 0xbf1a4643, v2
	v_fma_f32 v21, v48, s15, -v21
	v_add_f32_e32 v20, v50, v20
	v_mov_b32_e32 v50, v23
	v_add_f32_e32 v21, v21, v25
	v_fmac_f32_e32 v23, 0x3f4c4adb, v1
	v_mul_f32_e32 v25, 0xbeb8f4ab, v49
	v_add_f32_e32 v23, v23, v30
	v_mov_b32_e32 v30, v25
	v_fmac_f32_e32 v50, 0xbf4c4adb, v1
	v_fmac_f32_e32 v30, 0x3f6eb680, v48
	v_add_f32_e32 v24, v50, v24
	v_add_f32_e32 v50, v30, v31
	v_mul_f32_e32 v30, 0x3f6eb680, v2
	v_add_f32_e32 v34, v34, v62
	v_mov_b32_e32 v31, v30
	v_fmac_f32_e32 v30, 0xbeb8f4ab, v1
	v_add_f32_e32 v38, v38, v52
	v_fmac_f32_e32 v51, 0xbf59a7d5, v48
	v_fmac_f32_e32 v31, 0x3eb8f4ab, v1
	v_add_f32_e32 v52, v30, v34
	v_mul_f32_e32 v30, 0xbe3c28d5, v49
	v_add_f32_e32 v47, v51, v47
	v_add_f32_e32 v51, v31, v32
	v_mov_b32_e32 v31, v30
	v_fmac_f32_e32 v31, 0xbf7ba420, v48
	v_add_f32_e32 v41, v41, v53
	v_add_f32_e32 v53, v31, v35
	v_mul_f32_e32 v31, 0xbf7ba420, v2
	v_fma_f32 v30, v48, s21, -v30
	v_add_f32_e32 v39, v39, v55
	v_mov_b32_e32 v32, v31
	v_add_f32_e32 v55, v30, v37
	v_fmac_f32_e32 v31, 0xbe3c28d5, v1
	v_mul_f32_e32 v30, 0x3f2c7751, v49
	v_add_f32_e32 v43, v43, v56
	v_add_f32_e32 v56, v31, v38
	v_mov_b32_e32 v31, v30
	v_fmac_f32_e32 v31, 0x3f3d2fb0, v48
	v_add_f32_e32 v36, v36, v57
	v_fmac_f32_e32 v32, 0x3e3c28d5, v1
	v_add_f32_e32 v57, v31, v39
	v_mul_f32_e32 v31, 0x3f3d2fb0, v2
	v_fma_f32 v30, v48, s0, -v30
	v_add_f32_e32 v42, v42, v54
	v_add_f32_e32 v54, v32, v36
	v_mov_b32_e32 v32, v31
	v_add_f32_e32 v41, v30, v41
	v_fmac_f32_e32 v31, 0x3f2c7751, v1
	v_mul_f32_e32 v30, 0xbf763a35, v49
	v_add_f32_e32 v42, v31, v42
	v_mov_b32_e32 v31, v30
	v_fmac_f32_e32 v31, 0xbe8c1d8e, v48
	v_mul_f32_e32 v2, 0xbe8c1d8e, v2
	v_add_f32_e32 v40, v40, v59
	v_add_f32_e32 v43, v31, v43
	v_mov_b32_e32 v31, v2
	v_sub_f32_e32 v59, v4, v6
	v_fmac_f32_e32 v32, 0xbf2c7751, v1
	v_fmac_f32_e32 v31, 0x3f763a35, v1
	v_fmac_f32_e32 v2, 0xbf763a35, v1
	v_mul_f32_e32 v1, 0xbe3c28d5, v59
	v_fma_f32 v25, v48, s1, -v25
	v_fma_f32 v30, v48, s11, -v30
	v_add_f32_e32 v46, v2, v46
	v_add_f32_e32 v48, v5, v3
	v_mov_b32_e32 v2, v1
	v_add_f32_e32 v45, v45, v63
	v_add_f32_e32 v49, v6, v4
	v_fmac_f32_e32 v2, 0xbf7ba420, v48
	v_add_f32_e32 v45, v30, v45
	v_add_f32_e32 v30, v2, v47
	v_mul_f32_e32 v2, 0xbf7ba420, v49
	v_add_f32_e32 v44, v44, v58
	v_sub_f32_e32 v58, v3, v5
	v_mov_b32_e32 v3, v2
	v_fmac_f32_e32 v3, 0x3e3c28d5, v58
	v_add_f32_e32 v44, v31, v44
	v_add_f32_e32 v31, v3, v8
	v_mul_f32_e32 v3, 0x3eb8f4ab, v59
	v_mov_b32_e32 v4, v3
	v_fmac_f32_e32 v4, 0x3f6eb680, v48
	v_add_f32_e32 v40, v32, v40
	v_add_f32_e32 v32, v4, v11
	v_mul_f32_e32 v4, 0x3f6eb680, v49
	;; [unrolled: 5-line block ×3, first 2 shown]
	v_mov_b32_e32 v6, v5
	v_fmac_f32_e32 v6, 0xbf59a7d5, v48
	v_fmac_f32_e32 v2, 0xbe3c28d5, v58
	v_add_f32_e32 v34, v6, v15
	v_mul_f32_e32 v6, 0xbf59a7d5, v49
	v_add_f32_e32 v2, v2, v7
	v_mov_b32_e32 v7, v6
	v_fmac_f32_e32 v7, 0x3f06c442, v58
	v_add_f32_e32 v35, v7, v20
	v_mul_f32_e32 v7, 0x3f2c7751, v59
	v_mov_b32_e32 v8, v7
	v_fmac_f32_e32 v8, 0x3f3d2fb0, v48
	v_fma_f32 v1, v48, s21, -v1
	v_add_f32_e32 v36, v8, v22
	v_mul_f32_e32 v8, 0x3f3d2fb0, v49
	v_add_f32_e32 v1, v1, v9
	v_mov_b32_e32 v9, v8
	v_fmac_f32_e32 v9, 0xbf2c7751, v58
	v_fma_f32 v3, v48, s1, -v3
	v_add_f32_e32 v37, v9, v24
	v_mul_f32_e32 v9, 0xbf4c4adb, v59
	v_add_f32_e32 v3, v3, v10
	v_mov_b32_e32 v10, v9
	v_fmac_f32_e32 v10, 0xbf1a4643, v48
	v_add_f32_e32 v38, v10, v50
	v_mul_f32_e32 v10, 0xbf1a4643, v49
	v_mov_b32_e32 v11, v10
	v_fmac_f32_e32 v11, 0x3f4c4adb, v58
	v_fmac_f32_e32 v4, 0x3eb8f4ab, v58
	v_add_f32_e32 v39, v11, v51
	v_mul_f32_e32 v11, 0x3f65296c, v59
	v_add_f32_e32 v4, v4, v12
	v_mov_b32_e32 v12, v11
	v_fmac_f32_e32 v12, 0x3ee437d1, v48
	v_add_f32_e32 v22, v12, v53
	v_mul_f32_e32 v12, 0x3ee437d1, v49
	v_mov_b32_e32 v13, v12
	v_fmac_f32_e32 v8, 0x3f2c7751, v58
	v_fmac_f32_e32 v13, 0xbf65296c, v58
	v_fma_f32 v5, v48, s20, -v5
	v_add_f32_e32 v8, v8, v23
	v_add_f32_e32 v23, v13, v54
	v_mul_f32_e32 v13, 0xbf763a35, v59
	v_add_f32_e32 v5, v5, v14
	v_mov_b32_e32 v14, v13
	v_fmac_f32_e32 v14, 0xbe8c1d8e, v48
	v_add_f32_e32 v24, v14, v57
	v_mul_f32_e32 v14, 0xbe8c1d8e, v49
	v_fma_f32 v7, v48, s0, -v7
	v_mov_b32_e32 v15, v14
	v_fmac_f32_e32 v6, 0xbf06c442, v58
	v_add_f32_e32 v7, v7, v21
	v_fma_f32 v9, v48, s15, -v9
	v_fmac_f32_e32 v15, 0x3f763a35, v58
	v_mul_f32_e32 v20, 0x3f7ee86f, v59
	v_mul_f32_e32 v21, 0x3dbcf732, v49
	v_add_f32_e32 v6, v6, v16
	v_add_f32_e32 v9, v9, v25
	;; [unrolled: 1-line block ×3, first 2 shown]
	v_mov_b32_e32 v15, v20
	v_mov_b32_e32 v16, v21
	v_fmac_f32_e32 v10, 0xbf4c4adb, v58
	v_fma_f32 v11, v48, s14, -v11
	v_fmac_f32_e32 v12, 0x3f65296c, v58
	v_fma_f32 v13, v48, s11, -v13
	v_fmac_f32_e32 v14, 0xbf763a35, v58
	v_fmac_f32_e32 v15, 0x3dbcf732, v48
	v_fmac_f32_e32 v16, 0xbf7ee86f, v58
	v_fma_f32 v20, v48, s10, -v20
	v_fmac_f32_e32 v21, 0x3f7ee86f, v58
	v_mad_u32_u24 v29, v28, s12, v29
	v_add_f32_e32 v10, v10, v52
	v_add_f32_e32 v11, v11, v55
	;; [unrolled: 1-line block ×9, first 2 shown]
	s_barrier
	ds_write2_b64 v29, v[18:19], v[30:31] offset1:1
	ds_write2_b64 v29, v[32:33], v[34:35] offset0:2 offset1:3
	ds_write2_b64 v29, v[36:37], v[38:39] offset0:4 offset1:5
	;; [unrolled: 1-line block ×7, first 2 shown]
	ds_write_b64 v29, v[1:2] offset:128
	v_lshlrev_b32_e32 v9, 7, v28
	s_waitcnt lgkmcnt(0)
	s_barrier
	global_load_dwordx4 v[1:4], v9, s[8:9]
	global_load_dwordx4 v[5:8], v9, s[8:9] offset:16
	global_load_dwordx4 v[10:13], v9, s[8:9] offset:32
	;; [unrolled: 1-line block ×7, first 2 shown]
	ds_read2_b64 v[18:21], v26 offset0:17 offset1:34
	ds_read_b64 v[56:57], v27
	ds_read2_b64 v[48:51], v26 offset0:68 offset1:85
	ds_read2_b32 v[14:15], v26 offset0:102 offset1:103
	s_mul_i32 s12, s24, s18
	s_waitcnt vmcnt(7) lgkmcnt(3)
	v_mul_f32_e32 v60, v2, v19
	v_mul_f32_e32 v2, v2, v18
	v_fmac_f32_e32 v60, v1, v18
	v_fma_f32 v61, v1, v19, -v2
	v_mul_f32_e32 v62, v4, v21
	v_mul_f32_e32 v1, v4, v20
	v_fmac_f32_e32 v62, v3, v20
	v_fma_f32 v63, v3, v21, -v1
	ds_read2_b64 v[1:4], v26 offset0:102 offset1:119
	ds_read_b64 v[58:59], v26 offset:2176
	s_waitcnt vmcnt(6) lgkmcnt(2)
	v_mul_f32_e32 v24, v15, v6
	v_mul_f32_e32 v6, v6, v14
	v_fmac_f32_e32 v24, v5, v14
	v_fma_f32 v25, v15, v5, -v6
	v_mul_f32_e32 v5, v48, v8
	ds_read2_b64 v[52:55], v26 offset0:136 offset1:153
	v_mul_f32_e32 v20, v49, v8
	v_fma_f32 v21, v49, v7, -v5
	s_waitcnt vmcnt(5)
	v_mul_f32_e32 v15, v51, v11
	v_mul_f32_e32 v5, v50, v11
	v_fmac_f32_e32 v20, v48, v7
	v_fmac_f32_e32 v15, v50, v10
	v_fma_f32 v16, v51, v10, -v5
	s_waitcnt lgkmcnt(2)
	v_mul_f32_e32 v11, v2, v13
	ds_read2_b64 v[48:51], v26 offset0:170 offset1:187
	v_fmac_f32_e32 v11, v1, v12
	v_mul_f32_e32 v1, v1, v13
	v_fma_f32 v12, v2, v12, -v1
	s_waitcnt vmcnt(4)
	v_mul_f32_e32 v7, v4, v29
	v_mul_f32_e32 v1, v3, v29
	v_fmac_f32_e32 v7, v3, v28
	v_fma_f32 v8, v4, v28, -v1
	s_waitcnt lgkmcnt(1)
	v_mul_f32_e32 v3, v53, v31
	v_mul_f32_e32 v1, v52, v31
	v_fmac_f32_e32 v3, v52, v30
	v_fma_f32 v4, v53, v30, -v1
	ds_read2_b64 v[27:30], v26 offset0:204 offset1:221
	s_waitcnt vmcnt(3)
	v_mul_f32_e32 v1, v54, v33
	v_mul_f32_e32 v5, v55, v33
	v_fma_f32 v6, v55, v32, -v1
	s_waitcnt lgkmcnt(1)
	v_mul_f32_e32 v9, v49, v35
	v_mul_f32_e32 v1, v48, v35
	v_fmac_f32_e32 v5, v54, v32
	v_fmac_f32_e32 v9, v48, v34
	v_fma_f32 v10, v49, v34, -v1
	ds_read2_b64 v[31:34], v26 offset0:238 offset1:255
	s_waitcnt vmcnt(2)
	v_mul_f32_e32 v1, v50, v37
	v_fma_f32 v14, v51, v36, -v1
	s_waitcnt lgkmcnt(1)
	v_mul_f32_e32 v1, v27, v39
	v_fma_f32 v19, v28, v38, -v1
	s_waitcnt vmcnt(1)
	v_mul_f32_e32 v1, v29, v41
	v_add_f32_e32 v2, v61, v57
	v_fma_f32 v23, v30, v40, -v1
	s_waitcnt lgkmcnt(0)
	v_mul_f32_e32 v1, v31, v43
	v_add_f32_e32 v2, v2, v63
	v_mul_f32_e32 v18, v28, v39
	v_fma_f32 v28, v32, v42, -v1
	s_waitcnt vmcnt(0)
	v_mul_f32_e32 v1, v33, v45
	v_add_f32_e32 v2, v2, v25
	v_mul_f32_e32 v22, v30, v41
	v_fma_f32 v30, v34, v44, -v1
	v_mul_f32_e32 v1, v58, v47
	v_add_f32_e32 v2, v2, v21
	v_fmac_f32_e32 v18, v27, v38
	v_mul_f32_e32 v27, v32, v43
	v_fma_f32 v32, v59, v46, -v1
	v_add_f32_e32 v1, v60, v56
	v_add_f32_e32 v2, v2, v16
	;; [unrolled: 1-line block ×16, first 2 shown]
	v_mul_f32_e32 v13, v51, v37
	v_add_f32_e32 v1, v1, v5
	v_add_f32_e32 v2, v2, v23
	v_fmac_f32_e32 v13, v50, v36
	v_add_f32_e32 v1, v1, v9
	v_add_f32_e32 v2, v2, v28
	;; [unrolled: 1-line block ×4, first 2 shown]
	v_fmac_f32_e32 v22, v29, v40
	v_fmac_f32_e32 v27, v31, v42
	v_mul_f32_e32 v29, v34, v45
	v_mul_f32_e32 v31, v59, v47
	v_add_f32_e32 v1, v1, v18
	v_add_f32_e32 v2, v2, v32
	;; [unrolled: 1-line block ×3, first 2 shown]
	v_sub_f32_e32 v32, v61, v32
	v_fmac_f32_e32 v31, v58, v46
	v_add_f32_e32 v1, v1, v22
	v_mul_f32_e32 v35, 0xbeb8f4ab, v32
	v_mul_f32_e32 v37, 0xbf2c7751, v32
	;; [unrolled: 1-line block ×8, first 2 shown]
	v_fmac_f32_e32 v29, v33, v44
	v_add_f32_e32 v1, v1, v27
	v_add_f32_e32 v33, v60, v31
	v_mov_b32_e32 v36, v35
	v_mov_b32_e32 v38, v37
	;; [unrolled: 1-line block ×8, first 2 shown]
	v_add_f32_e32 v1, v1, v29
	v_fmac_f32_e32 v36, 0x3f6eb680, v33
	v_fma_f32 v35, v33, s1, -v35
	v_fmac_f32_e32 v38, 0x3f3d2fb0, v33
	v_fma_f32 v37, v33, s0, -v37
	;; [unrolled: 2-line block ×8, first 2 shown]
	v_mul_f32_e32 v33, 0x3f6eb680, v34
	v_mul_f32_e32 v51, 0x3f3d2fb0, v34
	;; [unrolled: 1-line block ×8, first 2 shown]
	v_add_f32_e32 v1, v1, v31
	v_sub_f32_e32 v31, v60, v31
	v_mov_b32_e32 v50, v33
	v_mov_b32_e32 v52, v51
	;; [unrolled: 1-line block ×8, first 2 shown]
	v_fmac_f32_e32 v50, 0x3eb8f4ab, v31
	v_fmac_f32_e32 v33, 0xbeb8f4ab, v31
	;; [unrolled: 1-line block ×16, first 2 shown]
	v_add_f32_e32 v31, v36, v56
	v_add_f32_e32 v36, v50, v57
	;; [unrolled: 1-line block ×18, first 2 shown]
	v_sub_f32_e32 v30, v63, v30
	v_add_f32_e32 v35, v35, v56
	v_add_f32_e32 v38, v38, v56
	;; [unrolled: 1-line block ×16, first 2 shown]
	v_sub_f32_e32 v29, v62, v29
	v_mul_f32_e32 v62, 0xbf2c7751, v30
	v_mov_b32_e32 v63, v62
	v_fmac_f32_e32 v63, 0x3f3d2fb0, v56
	v_add_f32_e32 v31, v63, v31
	v_mul_f32_e32 v63, 0x3f3d2fb0, v57
	v_fma_f32 v62, v56, s0, -v62
	v_mov_b32_e32 v67, v63
	v_add_f32_e32 v35, v62, v35
	v_fmac_f32_e32 v63, 0xbf2c7751, v29
	v_mul_f32_e32 v62, 0xbf7ee86f, v30
	v_add_f32_e32 v33, v63, v33
	v_mov_b32_e32 v63, v62
	v_fmac_f32_e32 v63, 0x3dbcf732, v56
	v_fmac_f32_e32 v67, 0x3f2c7751, v29
	v_add_f32_e32 v38, v63, v38
	v_mul_f32_e32 v63, 0x3dbcf732, v57
	v_fma_f32 v62, v56, s10, -v62
	v_add_f32_e32 v36, v67, v36
	v_mov_b32_e32 v67, v63
	v_add_f32_e32 v37, v62, v37
	v_fmac_f32_e32 v63, 0xbf7ee86f, v29
	v_mul_f32_e32 v62, 0xbf4c4adb, v30
	v_add_f32_e32 v51, v63, v51
	v_mov_b32_e32 v63, v62
	v_fmac_f32_e32 v63, 0xbf1a4643, v56
	v_fmac_f32_e32 v67, 0x3f7ee86f, v29
	v_add_f32_e32 v40, v63, v40
	v_mul_f32_e32 v63, 0xbf1a4643, v57
	v_fma_f32 v62, v56, s15, -v62
	v_add_f32_e32 v50, v67, v50
	;; [unrolled: 12-line block ×5, first 2 shown]
	v_mov_b32_e32 v67, v63
	v_add_f32_e32 v45, v62, v45
	v_fmac_f32_e32 v63, 0x3f763a35, v29
	v_mul_f32_e32 v62, 0x3f65296c, v30
	v_add_f32_e32 v61, v63, v61
	v_mov_b32_e32 v63, v62
	v_fmac_f32_e32 v63, 0x3ee437d1, v56
	v_fmac_f32_e32 v67, 0xbf763a35, v29
	v_add_f32_e32 v48, v63, v48
	v_mul_f32_e32 v63, 0x3ee437d1, v57
	v_add_f32_e32 v60, v67, v60
	v_mov_b32_e32 v67, v63
	v_fma_f32 v62, v56, s14, -v62
	v_fmac_f32_e32 v63, 0x3f65296c, v29
	v_mul_f32_e32 v30, 0x3eb8f4ab, v30
	v_add_f32_e32 v47, v62, v47
	v_add_f32_e32 v62, v63, v65
	v_mov_b32_e32 v63, v30
	v_fma_f32 v30, v56, s1, -v30
	v_fmac_f32_e32 v63, 0x3f6eb680, v56
	v_mul_f32_e32 v57, 0x3f6eb680, v57
	v_add_f32_e32 v30, v30, v32
	v_add_f32_e32 v32, v24, v27
	v_sub_f32_e32 v24, v24, v27
	v_add_f32_e32 v27, v25, v28
	v_sub_f32_e32 v25, v25, v28
	v_add_f32_e32 v49, v63, v49
	v_mov_b32_e32 v63, v57
	v_fmac_f32_e32 v57, 0x3eb8f4ab, v29
	v_mul_f32_e32 v28, 0xbf65296c, v25
	v_fmac_f32_e32 v67, 0xbf65296c, v29
	v_fmac_f32_e32 v63, 0xbeb8f4ab, v29
	v_add_f32_e32 v29, v57, v34
	v_mov_b32_e32 v34, v28
	v_fmac_f32_e32 v34, 0x3ee437d1, v32
	v_add_f32_e32 v31, v34, v31
	v_mul_f32_e32 v34, 0x3ee437d1, v27
	v_mov_b32_e32 v56, v34
	v_fmac_f32_e32 v34, 0xbf65296c, v24
	v_fma_f32 v28, v32, s14, -v28
	v_add_f32_e32 v33, v34, v33
	v_mul_f32_e32 v34, 0xbf4c4adb, v25
	v_add_f32_e32 v28, v28, v35
	v_mov_b32_e32 v35, v34
	v_fmac_f32_e32 v35, 0xbf1a4643, v32
	v_fmac_f32_e32 v56, 0x3f65296c, v24
	v_add_f32_e32 v35, v35, v38
	v_mul_f32_e32 v38, 0xbf1a4643, v27
	v_add_f32_e32 v36, v56, v36
	v_mov_b32_e32 v56, v38
	v_fma_f32 v34, v32, s15, -v34
	v_fmac_f32_e32 v38, 0xbf4c4adb, v24
	v_add_f32_e32 v34, v34, v37
	v_add_f32_e32 v37, v38, v51
	v_mul_f32_e32 v38, 0x3e3c28d5, v25
	v_mov_b32_e32 v51, v38
	v_fmac_f32_e32 v51, 0xbf7ba420, v32
	v_fmac_f32_e32 v56, 0x3f4c4adb, v24
	v_add_f32_e32 v40, v51, v40
	v_mul_f32_e32 v51, 0xbf7ba420, v27
	v_add_f32_e32 v50, v56, v50
	v_mov_b32_e32 v56, v51
	v_fma_f32 v38, v32, s21, -v38
	v_fmac_f32_e32 v51, 0x3e3c28d5, v24
	v_add_f32_e32 v38, v38, v39
	v_add_f32_e32 v39, v51, v53
	v_mul_f32_e32 v51, 0x3f763a35, v25
	;; [unrolled: 12-line block ×5, first 2 shown]
	v_mov_b32_e32 v59, v57
	v_fmac_f32_e32 v59, 0x3dbcf732, v32
	v_fmac_f32_e32 v58, 0x3eb8f4ab, v24
	v_add_f32_e32 v48, v59, v48
	v_mul_f32_e32 v59, 0x3dbcf732, v27
	v_add_f32_e32 v58, v58, v60
	v_mov_b32_e32 v60, v59
	v_fma_f32 v57, v32, s10, -v57
	v_fmac_f32_e32 v59, 0xbf7ee86f, v24
	v_mul_f32_e32 v25, 0xbf06c442, v25
	v_add_f32_e32 v47, v57, v47
	v_add_f32_e32 v57, v59, v62
	v_mov_b32_e32 v59, v25
	v_fmac_f32_e32 v59, 0xbf59a7d5, v32
	v_mul_f32_e32 v27, 0xbf59a7d5, v27
	v_add_f32_e32 v49, v59, v49
	v_mov_b32_e32 v59, v27
	v_fmac_f32_e32 v27, 0xbf06c442, v24
	v_fmac_f32_e32 v60, 0x3f7ee86f, v24
	;; [unrolled: 1-line block ×3, first 2 shown]
	v_add_f32_e32 v24, v27, v29
	v_add_f32_e32 v27, v20, v22
	v_sub_f32_e32 v20, v20, v22
	v_add_f32_e32 v22, v21, v23
	v_sub_f32_e32 v21, v21, v23
	v_mul_f32_e32 v23, 0xbf7ee86f, v21
	v_fma_f32 v25, v32, s20, -v25
	v_mov_b32_e32 v29, v23
	v_add_f32_e32 v25, v25, v30
	v_fmac_f32_e32 v29, 0x3dbcf732, v27
	v_mul_f32_e32 v30, 0x3dbcf732, v22
	v_add_f32_e32 v29, v29, v31
	v_mov_b32_e32 v31, v30
	v_fma_f32 v23, v27, s10, -v23
	v_fmac_f32_e32 v30, 0xbf7ee86f, v20
	v_add_f32_e32 v23, v23, v28
	v_add_f32_e32 v28, v30, v33
	v_mul_f32_e32 v30, 0xbe3c28d5, v21
	v_mov_b32_e32 v32, v30
	v_fma_f32 v30, v27, s21, -v30
	v_fmac_f32_e32 v31, 0x3f7ee86f, v20
	v_fmac_f32_e32 v32, 0xbf7ba420, v27
	v_mul_f32_e32 v33, 0xbf7ba420, v22
	v_add_f32_e32 v30, v30, v34
	v_mul_f32_e32 v34, 0x3f763a35, v21
	v_add_f32_e32 v31, v31, v36
	v_add_f32_e32 v32, v32, v35
	v_mov_b32_e32 v35, v33
	v_fmac_f32_e32 v33, 0xbe3c28d5, v20
	v_mov_b32_e32 v36, v34
	v_add_f32_e32 v33, v33, v37
	v_fmac_f32_e32 v36, 0xbe8c1d8e, v27
	v_mul_f32_e32 v37, 0xbe8c1d8e, v22
	v_fma_f32 v34, v27, s11, -v34
	v_add_f32_e32 v36, v36, v40
	v_mov_b32_e32 v40, v37
	v_add_f32_e32 v34, v34, v38
	v_fmac_f32_e32 v37, 0x3f763a35, v20
	v_mul_f32_e32 v38, 0x3eb8f4ab, v21
	v_add_f32_e32 v37, v37, v39
	v_mov_b32_e32 v39, v38
	v_fmac_f32_e32 v39, 0x3f6eb680, v27
	v_fmac_f32_e32 v35, 0x3e3c28d5, v20
	v_add_f32_e32 v39, v39, v42
	v_mul_f32_e32 v42, 0x3f6eb680, v22
	v_add_f32_e32 v35, v35, v50
	v_mov_b32_e32 v50, v42
	v_fma_f32 v38, v27, s1, -v38
	v_fmac_f32_e32 v42, 0x3eb8f4ab, v20
	v_add_f32_e32 v38, v38, v41
	v_add_f32_e32 v41, v42, v51
	v_mul_f32_e32 v42, 0xbf65296c, v21
	v_mov_b32_e32 v51, v42
	v_fmac_f32_e32 v51, 0x3ee437d1, v27
	v_fmac_f32_e32 v40, 0xbf763a35, v20
	v_add_f32_e32 v44, v51, v44
	v_mul_f32_e32 v51, 0x3ee437d1, v22
	v_add_f32_e32 v40, v40, v52
	v_mov_b32_e32 v52, v51
	v_fma_f32 v42, v27, s14, -v42
	v_fmac_f32_e32 v51, 0xbf65296c, v20
	v_add_f32_e32 v42, v42, v43
	v_add_f32_e32 v43, v51, v53
	v_mul_f32_e32 v51, 0xbf06c442, v21
	;; [unrolled: 12-line block ×3, first 2 shown]
	v_mov_b32_e32 v55, v53
	v_fmac_f32_e32 v55, 0xbf1a4643, v27
	v_fmac_f32_e32 v52, 0x3f65296c, v20
	v_add_f32_e32 v48, v55, v48
	v_mul_f32_e32 v55, 0xbf1a4643, v22
	v_add_f32_e32 v52, v52, v56
	v_mov_b32_e32 v56, v55
	v_fma_f32 v53, v27, s15, -v53
	v_fmac_f32_e32 v55, 0x3f4c4adb, v20
	v_mul_f32_e32 v21, 0x3f2c7751, v21
	v_add_f32_e32 v47, v53, v47
	v_add_f32_e32 v53, v55, v57
	v_mov_b32_e32 v55, v21
	v_fmac_f32_e32 v55, 0x3f3d2fb0, v27
	v_mul_f32_e32 v22, 0x3f3d2fb0, v22
	v_add_f32_e32 v49, v55, v49
	v_mov_b32_e32 v55, v22
	v_fmac_f32_e32 v22, 0x3f2c7751, v20
	v_fmac_f32_e32 v54, 0x3f06c442, v20
	;; [unrolled: 1-line block ×4, first 2 shown]
	v_fma_f32 v21, v27, s0, -v21
	v_add_f32_e32 v20, v22, v24
	v_add_f32_e32 v22, v15, v18
	v_sub_f32_e32 v15, v15, v18
	v_add_f32_e32 v18, v16, v19
	v_sub_f32_e32 v16, v16, v19
	v_add_f32_e32 v21, v21, v25
	v_mul_f32_e32 v19, 0xbf763a35, v16
	v_mul_f32_e32 v25, 0xbe8c1d8e, v18
	v_mov_b32_e32 v24, v19
	v_mov_b32_e32 v27, v25
	v_fma_f32 v19, v22, s11, -v19
	v_fmac_f32_e32 v25, 0xbf763a35, v15
	v_add_f32_e32 v19, v19, v23
	v_add_f32_e32 v23, v25, v28
	v_mul_f32_e32 v25, 0x3f06c442, v16
	v_fmac_f32_e32 v24, 0xbe8c1d8e, v22
	v_mov_b32_e32 v28, v25
	v_fma_f32 v25, v22, s20, -v25
	v_add_f32_e32 v24, v24, v29
	v_fmac_f32_e32 v27, 0x3f763a35, v15
	v_fmac_f32_e32 v28, 0xbf59a7d5, v22
	v_mul_f32_e32 v29, 0xbf59a7d5, v18
	v_add_f32_e32 v25, v25, v30
	v_mul_f32_e32 v30, 0x3f2c7751, v16
	v_add_f32_e32 v27, v27, v31
	v_add_f32_e32 v28, v28, v32
	v_mov_b32_e32 v31, v29
	v_fmac_f32_e32 v29, 0x3f06c442, v15
	v_mov_b32_e32 v32, v30
	v_fma_f32 v30, v22, s0, -v30
	v_fmac_f32_e32 v31, 0xbf06c442, v15
	v_add_f32_e32 v29, v29, v33
	v_fmac_f32_e32 v32, 0x3f3d2fb0, v22
	v_mul_f32_e32 v33, 0x3f3d2fb0, v18
	v_add_f32_e32 v30, v30, v34
	v_mul_f32_e32 v34, 0xbf65296c, v16
	v_add_f32_e32 v31, v31, v35
	v_add_f32_e32 v32, v32, v36
	v_mov_b32_e32 v35, v33
	v_fmac_f32_e32 v33, 0x3f2c7751, v15
	v_mov_b32_e32 v36, v34
	v_fma_f32 v34, v22, s14, -v34
	v_fmac_f32_e32 v35, 0xbf2c7751, v15
	v_add_f32_e32 v33, v33, v37
	v_fmac_f32_e32 v36, 0x3ee437d1, v22
	v_mul_f32_e32 v37, 0x3ee437d1, v18
	v_add_f32_e32 v34, v34, v38
	v_mul_f32_e32 v38, 0xbe3c28d5, v16
	v_add_f32_e32 v35, v35, v40
	v_add_f32_e32 v36, v36, v39
	v_mov_b32_e32 v39, v37
	v_fmac_f32_e32 v37, 0xbf65296c, v15
	v_mov_b32_e32 v40, v38
	v_add_f32_e32 v37, v37, v41
	v_fmac_f32_e32 v40, 0xbf7ba420, v22
	v_mul_f32_e32 v41, 0xbf7ba420, v18
	v_fma_f32 v38, v22, s21, -v38
	v_add_f32_e32 v40, v40, v44
	v_mov_b32_e32 v44, v41
	v_add_f32_e32 v38, v38, v42
	v_fmac_f32_e32 v41, 0xbe3c28d5, v15
	v_mul_f32_e32 v42, 0x3f7ee86f, v16
	v_add_f32_e32 v41, v41, v43
	v_mov_b32_e32 v43, v42
	v_fmac_f32_e32 v43, 0x3dbcf732, v22
	v_fmac_f32_e32 v39, 0x3f65296c, v15
	v_add_f32_e32 v43, v43, v46
	v_mul_f32_e32 v46, 0x3dbcf732, v18
	v_add_f32_e32 v39, v39, v50
	v_mov_b32_e32 v50, v46
	v_fma_f32 v42, v22, s10, -v42
	v_fmac_f32_e32 v46, 0x3f7ee86f, v15
	v_add_f32_e32 v42, v42, v45
	v_add_f32_e32 v45, v46, v51
	v_mul_f32_e32 v46, 0xbeb8f4ab, v16
	v_mov_b32_e32 v51, v46
	v_fmac_f32_e32 v51, 0x3f6eb680, v22
	v_fmac_f32_e32 v44, 0x3e3c28d5, v15
	v_add_f32_e32 v48, v51, v48
	v_mul_f32_e32 v51, 0x3f6eb680, v18
	v_add_f32_e32 v44, v44, v52
	v_mov_b32_e32 v52, v51
	v_fma_f32 v46, v22, s1, -v46
	v_fmac_f32_e32 v51, 0xbeb8f4ab, v15
	v_mul_f32_e32 v16, 0xbf4c4adb, v16
	v_add_f32_e32 v46, v46, v47
	v_add_f32_e32 v47, v51, v53
	v_mov_b32_e32 v51, v16
	v_fmac_f32_e32 v51, 0xbf1a4643, v22
	v_mul_f32_e32 v18, 0xbf1a4643, v18
	v_add_f32_e32 v49, v51, v49
	v_mov_b32_e32 v51, v18
	v_fmac_f32_e32 v18, 0xbf4c4adb, v15
	v_fmac_f32_e32 v50, 0xbf7ee86f, v15
	;; [unrolled: 1-line block ×4, first 2 shown]
	v_fma_f32 v16, v22, s15, -v16
	v_add_f32_e32 v15, v18, v20
	v_add_f32_e32 v20, v12, v14
	v_sub_f32_e32 v12, v12, v14
	v_add_f32_e32 v16, v16, v21
	v_add_f32_e32 v18, v11, v13
	v_sub_f32_e32 v11, v11, v13
	v_mul_f32_e32 v13, 0xbf4c4adb, v12
	v_mul_f32_e32 v21, 0xbf1a4643, v20
	v_mov_b32_e32 v14, v13
	v_mov_b32_e32 v22, v21
	v_fma_f32 v13, v18, s15, -v13
	v_fmac_f32_e32 v21, 0xbf4c4adb, v11
	v_add_f32_e32 v13, v13, v19
	v_add_f32_e32 v19, v21, v23
	v_mul_f32_e32 v21, 0x3f763a35, v12
	v_fmac_f32_e32 v14, 0xbf1a4643, v18
	v_mov_b32_e32 v23, v21
	v_fma_f32 v21, v18, s11, -v21
	v_add_f32_e32 v14, v14, v24
	v_fmac_f32_e32 v22, 0x3f4c4adb, v11
	v_fmac_f32_e32 v23, 0xbe8c1d8e, v18
	v_mul_f32_e32 v24, 0xbe8c1d8e, v20
	v_add_f32_e32 v21, v21, v25
	v_mul_f32_e32 v25, 0xbeb8f4ab, v12
	v_add_f32_e32 v22, v22, v27
	v_add_f32_e32 v23, v23, v28
	v_mov_b32_e32 v27, v24
	v_fmac_f32_e32 v24, 0x3f763a35, v11
	v_mov_b32_e32 v28, v25
	v_fma_f32 v25, v18, s1, -v25
	v_fmac_f32_e32 v27, 0xbf763a35, v11
	v_add_f32_e32 v24, v24, v29
	v_fmac_f32_e32 v28, 0x3f6eb680, v18
	v_mul_f32_e32 v29, 0x3f6eb680, v20
	v_add_f32_e32 v25, v25, v30
	v_mul_f32_e32 v30, 0xbf06c442, v12
	v_add_f32_e32 v27, v27, v31
	v_add_f32_e32 v28, v28, v32
	v_mov_b32_e32 v31, v29
	v_fmac_f32_e32 v29, 0xbeb8f4ab, v11
	v_mov_b32_e32 v32, v30
	v_fma_f32 v30, v18, s20, -v30
	v_fmac_f32_e32 v31, 0x3eb8f4ab, v11
	v_add_f32_e32 v29, v29, v33
	;; [unrolled: 12-line block ×4, first 2 shown]
	v_fmac_f32_e32 v40, 0x3f3d2fb0, v18
	v_mul_f32_e32 v41, 0x3f3d2fb0, v20
	v_add_f32_e32 v38, v38, v42
	v_mul_f32_e32 v42, 0xbe3c28d5, v12
	v_add_f32_e32 v39, v39, v44
	v_add_f32_e32 v40, v40, v43
	v_mov_b32_e32 v43, v41
	v_fmac_f32_e32 v41, 0xbf2c7751, v11
	v_mov_b32_e32 v44, v42
	v_add_f32_e32 v41, v41, v45
	v_fmac_f32_e32 v44, 0xbf7ba420, v18
	v_mul_f32_e32 v45, 0xbf7ba420, v20
	v_fma_f32 v42, v18, s21, -v42
	v_mul_f32_e32 v12, 0x3f65296c, v12
	v_add_f32_e32 v44, v44, v48
	v_mov_b32_e32 v48, v45
	v_add_f32_e32 v42, v42, v46
	v_fmac_f32_e32 v45, 0xbe3c28d5, v11
	v_mov_b32_e32 v46, v12
	v_mul_f32_e32 v20, 0x3ee437d1, v20
	v_fma_f32 v12, v18, s14, -v12
	v_add_f32_e32 v45, v45, v47
	v_mov_b32_e32 v47, v20
	v_add_f32_e32 v12, v12, v16
	v_fmac_f32_e32 v20, 0x3f65296c, v11
	v_add_f32_e32 v16, v8, v10
	v_sub_f32_e32 v8, v8, v10
	v_fmac_f32_e32 v43, 0x3f2c7751, v11
	v_fmac_f32_e32 v48, 0x3e3c28d5, v11
	;; [unrolled: 1-line block ×3, first 2 shown]
	v_add_f32_e32 v11, v20, v15
	v_add_f32_e32 v15, v7, v9
	v_sub_f32_e32 v7, v7, v9
	v_mul_f32_e32 v9, 0xbf06c442, v8
	v_mov_b32_e32 v10, v9
	v_fmac_f32_e32 v10, 0xbf59a7d5, v15
	v_add_f32_e32 v10, v10, v14
	v_mul_f32_e32 v14, 0xbf59a7d5, v16
	v_fmac_f32_e32 v46, 0x3ee437d1, v18
	v_mov_b32_e32 v18, v14
	v_fma_f32 v9, v15, s20, -v9
	v_fmac_f32_e32 v14, 0xbf06c442, v7
	v_fmac_f32_e32 v18, 0x3f06c442, v7
	v_add_f32_e32 v9, v9, v13
	v_add_f32_e32 v13, v14, v19
	v_mul_f32_e32 v14, 0x3f65296c, v8
	v_mul_f32_e32 v20, 0x3ee437d1, v16
	v_add_f32_e32 v18, v18, v22
	v_mov_b32_e32 v19, v14
	v_mov_b32_e32 v22, v20
	v_fma_f32 v14, v15, s14, -v14
	v_fmac_f32_e32 v20, 0x3f65296c, v7
	v_fmac_f32_e32 v19, 0x3ee437d1, v15
	;; [unrolled: 1-line block ×3, first 2 shown]
	v_add_f32_e32 v14, v14, v21
	v_add_f32_e32 v20, v20, v24
	v_mul_f32_e32 v21, 0xbf7ee86f, v8
	v_mul_f32_e32 v24, 0x3dbcf732, v16
	v_add_f32_e32 v19, v19, v23
	v_add_f32_e32 v22, v22, v27
	v_mov_b32_e32 v23, v21
	v_mov_b32_e32 v27, v24
	v_fma_f32 v21, v15, s10, -v21
	v_fmac_f32_e32 v27, 0x3f7ee86f, v7
	v_add_f32_e32 v21, v21, v25
	v_mul_f32_e32 v25, 0x3f4c4adb, v8
	v_add_f32_e32 v63, v63, v66
	v_add_f32_e32 v54, v54, v58
	;; [unrolled: 1-line block ×4, first 2 shown]
	v_mov_b32_e32 v27, v25
	v_add_f32_e32 v59, v59, v63
	v_add_f32_e32 v50, v50, v54
	v_fmac_f32_e32 v27, 0xbf1a4643, v15
	v_add_f32_e32 v55, v55, v59
	v_add_f32_e32 v43, v43, v50
	v_fmac_f32_e32 v23, 0x3dbcf732, v15
	v_add_f32_e32 v50, v27, v32
	v_mul_f32_e32 v27, 0xbf1a4643, v16
	v_add_f32_e32 v51, v51, v55
	v_add_f32_e32 v23, v23, v28
	v_mov_b32_e32 v28, v27
	v_fmac_f32_e32 v27, 0x3f4c4adb, v7
	v_add_f32_e32 v64, v67, v64
	v_add_f32_e32 v47, v47, v51
	v_fmac_f32_e32 v28, 0xbf4c4adb, v7
	v_add_f32_e32 v51, v27, v33
	v_mul_f32_e32 v27, 0xbeb8f4ab, v8
	v_add_f32_e32 v60, v60, v64
	v_add_f32_e32 v35, v28, v35
	v_mov_b32_e32 v28, v27
	v_add_f32_e32 v56, v56, v60
	v_fmac_f32_e32 v28, 0x3f6eb680, v15
	v_add_f32_e32 v52, v52, v56
	v_fmac_f32_e32 v24, 0xbf7ee86f, v7
	v_add_f32_e32 v36, v28, v36
	v_mul_f32_e32 v28, 0x3f6eb680, v16
	v_fma_f32 v27, v15, s1, -v27
	v_add_f32_e32 v48, v48, v52
	v_add_f32_e32 v24, v24, v29
	v_mov_b32_e32 v29, v28
	v_add_f32_e32 v52, v27, v34
	v_fmac_f32_e32 v28, 0xbeb8f4ab, v7
	v_mul_f32_e32 v27, 0xbe3c28d5, v8
	v_add_f32_e32 v37, v28, v37
	v_mov_b32_e32 v28, v27
	v_fmac_f32_e32 v28, 0xbf7ba420, v15
	v_fmac_f32_e32 v29, 0x3eb8f4ab, v7
	v_add_f32_e32 v40, v28, v40
	v_mul_f32_e32 v28, 0xbf7ba420, v16
	v_fma_f32 v27, v15, s21, -v27
	v_add_f32_e32 v39, v29, v39
	v_mov_b32_e32 v29, v28
	v_add_f32_e32 v38, v27, v38
	v_fmac_f32_e32 v28, 0xbe3c28d5, v7
	v_mul_f32_e32 v27, 0x3f2c7751, v8
	v_add_f32_e32 v41, v28, v41
	v_mov_b32_e32 v28, v27
	v_fma_f32 v27, v15, s0, -v27
	v_mul_f32_e32 v8, 0xbf763a35, v8
	v_fmac_f32_e32 v28, 0x3f3d2fb0, v15
	v_add_f32_e32 v42, v27, v42
	v_mov_b32_e32 v27, v8
	v_sub_f32_e32 v58, v4, v6
	v_add_f32_e32 v44, v28, v44
	v_mul_f32_e32 v28, 0x3f3d2fb0, v16
	v_fmac_f32_e32 v27, 0xbe8c1d8e, v15
	v_mul_f32_e32 v16, 0xbe8c1d8e, v16
	v_add_f32_e32 v55, v3, v5
	v_sub_f32_e32 v57, v3, v5
	v_mul_f32_e32 v3, 0xbe3c28d5, v58
	v_add_f32_e32 v46, v27, v46
	v_mov_b32_e32 v27, v16
	v_add_f32_e32 v56, v4, v6
	v_mov_b32_e32 v4, v3
	v_fmac_f32_e32 v27, 0x3f763a35, v7
	v_fmac_f32_e32 v4, 0xbf7ba420, v55
	v_add_f32_e32 v47, v27, v47
	v_add_f32_e32 v27, v4, v10
	v_mul_f32_e32 v4, 0xbf7ba420, v56
	v_fmac_f32_e32 v29, 0x3e3c28d5, v7
	v_mov_b32_e32 v5, v4
	v_add_f32_e32 v43, v29, v43
	v_mov_b32_e32 v29, v28
	v_fmac_f32_e32 v28, 0x3f2c7751, v7
	v_fmac_f32_e32 v5, 0x3e3c28d5, v57
	v_add_f32_e32 v45, v28, v45
	v_add_f32_e32 v28, v5, v18
	v_mul_f32_e32 v5, 0x3eb8f4ab, v58
	v_mov_b32_e32 v6, v5
	v_fmac_f32_e32 v29, 0xbf2c7751, v7
	v_fmac_f32_e32 v6, 0x3f6eb680, v55
	v_add_f32_e32 v48, v29, v48
	v_add_f32_e32 v29, v6, v19
	v_mul_f32_e32 v6, 0x3f6eb680, v56
	v_fmac_f32_e32 v16, 0xbf763a35, v7
	v_mov_b32_e32 v7, v6
	v_fma_f32 v25, v15, s15, -v25
	v_fmac_f32_e32 v7, 0xbeb8f4ab, v57
	v_add_f32_e32 v25, v25, v30
	v_fma_f32 v8, v15, s11, -v8
	v_add_f32_e32 v30, v7, v22
	v_mul_f32_e32 v7, 0xbf06c442, v58
	v_add_f32_e32 v53, v8, v12
	v_mov_b32_e32 v8, v7
	v_fmac_f32_e32 v8, 0xbf59a7d5, v55
	v_fma_f32 v3, v55, s21, -v3
	v_add_f32_e32 v31, v8, v23
	v_mul_f32_e32 v8, 0xbf59a7d5, v56
	v_add_f32_e32 v3, v3, v9
	v_mov_b32_e32 v9, v8
	v_fmac_f32_e32 v9, 0x3f06c442, v57
	v_add_f32_e32 v32, v9, v49
	v_mul_f32_e32 v9, 0x3f2c7751, v58
	v_mov_b32_e32 v10, v9
	v_fmac_f32_e32 v10, 0x3f3d2fb0, v55
	v_add_f32_e32 v33, v10, v50
	v_mul_f32_e32 v10, 0x3f3d2fb0, v56
	v_add_f32_e32 v54, v16, v11
	v_mov_b32_e32 v11, v10
	v_fmac_f32_e32 v11, 0xbf2c7751, v57
	v_add_f32_e32 v34, v11, v35
	v_mul_f32_e32 v11, 0xbf4c4adb, v58
	v_mov_b32_e32 v12, v11
	v_fmac_f32_e32 v12, 0xbf1a4643, v55
	v_fmac_f32_e32 v4, 0xbe3c28d5, v57
	v_add_f32_e32 v35, v12, v36
	v_mul_f32_e32 v12, 0xbf1a4643, v56
	v_add_f32_e32 v4, v4, v13
	v_mov_b32_e32 v13, v12
	v_fmac_f32_e32 v13, 0x3f4c4adb, v57
	v_fma_f32 v5, v55, s1, -v5
	v_add_f32_e32 v36, v13, v39
	v_mul_f32_e32 v13, 0x3f65296c, v58
	v_mul_f32_e32 v18, 0xbf763a35, v58
	v_add_f32_e32 v5, v5, v14
	v_mov_b32_e32 v14, v13
	v_mov_b32_e32 v19, v18
	v_fmac_f32_e32 v6, 0x3eb8f4ab, v57
	v_fmac_f32_e32 v8, 0xbf06c442, v57
	v_fma_f32 v9, v55, s0, -v9
	v_fmac_f32_e32 v14, 0x3ee437d1, v55
	v_fmac_f32_e32 v19, 0xbe8c1d8e, v55
	v_add_f32_e32 v6, v6, v20
	v_fma_f32 v7, v55, s20, -v7
	v_add_f32_e32 v8, v8, v24
	v_add_f32_e32 v9, v9, v25
	;; [unrolled: 1-line block ×3, first 2 shown]
	v_mul_f32_e32 v14, 0x3ee437d1, v56
	v_add_f32_e32 v20, v19, v44
	v_mul_f32_e32 v19, 0xbe8c1d8e, v56
	v_mul_f32_e32 v24, 0x3f7ee86f, v58
	;; [unrolled: 1-line block ×3, first 2 shown]
	v_add_f32_e32 v7, v7, v21
	v_mov_b32_e32 v16, v14
	v_mov_b32_e32 v21, v19
	;; [unrolled: 1-line block ×4, first 2 shown]
	v_fmac_f32_e32 v16, 0xbf65296c, v57
	v_fma_f32 v13, v55, s14, -v13
	v_fmac_f32_e32 v14, 0x3f65296c, v57
	v_fmac_f32_e32 v21, 0x3f763a35, v57
	v_fma_f32 v18, v55, s11, -v18
	v_fmac_f32_e32 v19, 0xbf763a35, v57
	v_fmac_f32_e32 v22, 0x3dbcf732, v55
	;; [unrolled: 1-line block ×3, first 2 shown]
	v_fma_f32 v24, v55, s10, -v24
	v_fmac_f32_e32 v25, 0x3f7ee86f, v57
	v_add_f32_e32 v16, v16, v43
	v_add_f32_e32 v13, v13, v38
	;; [unrolled: 1-line block ×10, first 2 shown]
	s_barrier
	ds_write2_b64 v26, v[1:2], v[27:28] offset1:17
	ds_write2_b64 v26, v[29:30], v[31:32] offset0:34 offset1:51
	ds_write2_b64 v26, v[33:34], v[35:36] offset0:68 offset1:85
	;; [unrolled: 1-line block ×5, first 2 shown]
	v_mul_u32_u24_e32 v1, 0x2493, v0
	v_lshrrev_b32_e32 v13, 16, v1
	v_mul_lo_u16_e32 v1, 7, v13
	v_sub_u16_e32 v14, v0, v1
	v_mad_u64_u32 v[1:2], s[0:1], s16, v14, 0
	v_fmac_f32_e32 v10, 0x3f2c7751, v57
	v_fma_f32 v11, v55, s15, -v11
	v_fmac_f32_e32 v12, 0xbf4c4adb, v57
	v_add_f32_e32 v10, v10, v51
	v_add_f32_e32 v11, v11, v52
	;; [unrolled: 1-line block ×3, first 2 shown]
	ds_write2_b64 v26, v[11:12], v[9:10] offset0:204 offset1:221
	ds_write2_b64 v26, v[7:8], v[5:6] offset0:238 offset1:255
	ds_write_b64 v26, v[3:4] offset:2176
	v_mad_u64_u32 v[2:3], s[0:1], s17, v14, v[2:3]
	s_lshl_b64 s[0:1], s[4:5], 3
	s_add_u32 s2, s2, s0
	s_addc_u32 s3, s3, s1
	s_lshl_b64 s[0:1], s[12:13], 3
	s_add_u32 s2, s2, s0
	v_mul_lo_u32 v16, s19, v13
	v_mul_lo_u16_e32 v3, 0x122, v14
	s_addc_u32 s3, s3, s1
	s_lshl_b64 s[0:1], s[6:7], 3
	v_lshlrev_b32_e32 v7, 3, v3
	v_lshlrev_b32_e32 v8, 3, v13
	s_add_u32 s0, s2, s0
	v_lshlrev_b64 v[1:2], 3, v[1:2]
	v_add3_u32 v3, 0, v7, v8
	s_addc_u32 s1, s3, s1
	s_waitcnt lgkmcnt(0)
	s_barrier
	ds_read_b64 v[3:4], v3
	v_mov_b32_e32 v5, s1
	v_add_co_u32_e32 v1, vcc, s0, v1
	v_addc_co_u32_e32 v2, vcc, v5, v2, vcc
	v_lshlrev_b64 v[5:6], 3, v[16:17]
	s_mul_i32 s19, s19, 17
	v_add_co_u32_e32 v5, vcc, v1, v5
	v_addc_co_u32_e32 v6, vcc, v2, v6, vcc
	s_waitcnt lgkmcnt(0)
	global_store_dwordx2 v[5:6], v[3:4], off
	v_add3_u32 v3, 0, v8, v7
	v_add_u32_e32 v16, s19, v16
	ds_read2_b64 v[4:7], v3 offset0:17 offset1:34
	v_lshlrev_b64 v[8:9], 3, v[16:17]
	v_add_u32_e32 v16, s19, v16
	v_add_co_u32_e32 v8, vcc, v1, v8
	v_addc_co_u32_e32 v9, vcc, v2, v9, vcc
	s_waitcnt lgkmcnt(0)
	global_store_dwordx2 v[8:9], v[4:5], off
	v_lshlrev_b64 v[4:5], 3, v[16:17]
	v_add_u32_e32 v16, s19, v16
	v_add_co_u32_e32 v4, vcc, v1, v4
	v_addc_co_u32_e32 v5, vcc, v2, v5, vcc
	global_store_dwordx2 v[4:5], v[6:7], off
	ds_read2_b64 v[4:7], v3 offset0:51 offset1:68
	v_lshlrev_b64 v[8:9], 3, v[16:17]
	v_add_u32_e32 v16, s19, v16
	v_add_co_u32_e32 v8, vcc, v1, v8
	v_addc_co_u32_e32 v9, vcc, v2, v9, vcc
	s_waitcnt lgkmcnt(0)
	global_store_dwordx2 v[8:9], v[4:5], off
	v_lshlrev_b64 v[4:5], 3, v[16:17]
	v_add_u32_e32 v16, s19, v16
	v_add_co_u32_e32 v4, vcc, v1, v4
	v_addc_co_u32_e32 v5, vcc, v2, v5, vcc
	global_store_dwordx2 v[4:5], v[6:7], off
	;; [unrolled: 12-line block ×7, first 2 shown]
	v_add_u32_e32 v4, 0x400, v3
	ds_read2_b64 v[4:7], v4 offset0:127 offset1:144
	v_lshlrev_b64 v[8:9], 3, v[16:17]
	v_add_u32_e32 v16, s19, v16
	v_add_co_u32_e32 v8, vcc, v1, v8
	v_addc_co_u32_e32 v9, vcc, v2, v9, vcc
	s_waitcnt lgkmcnt(0)
	global_store_dwordx2 v[8:9], v[4:5], off
	v_lshlrev_b64 v[4:5], 3, v[16:17]
	v_add_co_u32_e32 v4, vcc, v1, v4
	v_addc_co_u32_e32 v5, vcc, v2, v5, vcc
	v_cmp_gt_u32_e32 vcc, 7, v0
	global_store_dwordx2 v[4:5], v[6:7], off
	s_and_saveexec_b64 s[0:1], vcc
	s_cbranch_execz .LBB0_2
; %bb.1:
	v_add_u32_e32 v16, s19, v16
	ds_read_b64 v[3:4], v3 offset:2312
	v_lshlrev_b64 v[5:6], 3, v[16:17]
	v_add_co_u32_e32 v0, vcc, v1, v5
	v_addc_co_u32_e32 v1, vcc, v2, v6, vcc
	s_waitcnt lgkmcnt(0)
	global_store_dwordx2 v[0:1], v[3:4], off
.LBB0_2:
	s_endpgm
	.section	.rodata,"a",@progbits
	.p2align	6, 0x0
	.amdhsa_kernel fft_rtc_back_len289_factors_17_17_wgs_119_tpt_17_sp_op_CI_CI_sbrc_erc_z_xy_aligned_dirReg
		.amdhsa_group_segment_fixed_size 0
		.amdhsa_private_segment_fixed_size 0
		.amdhsa_kernarg_size 104
		.amdhsa_user_sgpr_count 6
		.amdhsa_user_sgpr_private_segment_buffer 1
		.amdhsa_user_sgpr_dispatch_ptr 0
		.amdhsa_user_sgpr_queue_ptr 0
		.amdhsa_user_sgpr_kernarg_segment_ptr 1
		.amdhsa_user_sgpr_dispatch_id 0
		.amdhsa_user_sgpr_flat_scratch_init 0
		.amdhsa_user_sgpr_private_segment_size 0
		.amdhsa_uses_dynamic_stack 0
		.amdhsa_system_sgpr_private_segment_wavefront_offset 0
		.amdhsa_system_sgpr_workgroup_id_x 1
		.amdhsa_system_sgpr_workgroup_id_y 0
		.amdhsa_system_sgpr_workgroup_id_z 0
		.amdhsa_system_sgpr_workgroup_info 0
		.amdhsa_system_vgpr_workitem_id 0
		.amdhsa_next_free_vgpr 75
		.amdhsa_next_free_sgpr 28
		.amdhsa_reserve_vcc 1
		.amdhsa_reserve_flat_scratch 0
		.amdhsa_float_round_mode_32 0
		.amdhsa_float_round_mode_16_64 0
		.amdhsa_float_denorm_mode_32 3
		.amdhsa_float_denorm_mode_16_64 3
		.amdhsa_dx10_clamp 1
		.amdhsa_ieee_mode 1
		.amdhsa_fp16_overflow 0
		.amdhsa_exception_fp_ieee_invalid_op 0
		.amdhsa_exception_fp_denorm_src 0
		.amdhsa_exception_fp_ieee_div_zero 0
		.amdhsa_exception_fp_ieee_overflow 0
		.amdhsa_exception_fp_ieee_underflow 0
		.amdhsa_exception_fp_ieee_inexact 0
		.amdhsa_exception_int_div_zero 0
	.end_amdhsa_kernel
	.text
.Lfunc_end0:
	.size	fft_rtc_back_len289_factors_17_17_wgs_119_tpt_17_sp_op_CI_CI_sbrc_erc_z_xy_aligned_dirReg, .Lfunc_end0-fft_rtc_back_len289_factors_17_17_wgs_119_tpt_17_sp_op_CI_CI_sbrc_erc_z_xy_aligned_dirReg
                                        ; -- End function
	.section	.AMDGPU.csdata,"",@progbits
; Kernel info:
; codeLenInByte = 14116
; NumSgprs: 32
; NumVgprs: 75
; ScratchSize: 0
; MemoryBound: 0
; FloatMode: 240
; IeeeMode: 1
; LDSByteSize: 0 bytes/workgroup (compile time only)
; SGPRBlocks: 3
; VGPRBlocks: 18
; NumSGPRsForWavesPerEU: 32
; NumVGPRsForWavesPerEU: 75
; Occupancy: 3
; WaveLimiterHint : 1
; COMPUTE_PGM_RSRC2:SCRATCH_EN: 0
; COMPUTE_PGM_RSRC2:USER_SGPR: 6
; COMPUTE_PGM_RSRC2:TRAP_HANDLER: 0
; COMPUTE_PGM_RSRC2:TGID_X_EN: 1
; COMPUTE_PGM_RSRC2:TGID_Y_EN: 0
; COMPUTE_PGM_RSRC2:TGID_Z_EN: 0
; COMPUTE_PGM_RSRC2:TIDIG_COMP_CNT: 0
	.type	__hip_cuid_f53af0453cf372e7,@object ; @__hip_cuid_f53af0453cf372e7
	.section	.bss,"aw",@nobits
	.globl	__hip_cuid_f53af0453cf372e7
__hip_cuid_f53af0453cf372e7:
	.byte	0                               ; 0x0
	.size	__hip_cuid_f53af0453cf372e7, 1

	.ident	"AMD clang version 19.0.0git (https://github.com/RadeonOpenCompute/llvm-project roc-6.4.0 25133 c7fe45cf4b819c5991fe208aaa96edf142730f1d)"
	.section	".note.GNU-stack","",@progbits
	.addrsig
	.addrsig_sym __hip_cuid_f53af0453cf372e7
	.amdgpu_metadata
---
amdhsa.kernels:
  - .args:
      - .actual_access:  read_only
        .address_space:  global
        .offset:         0
        .size:           8
        .value_kind:     global_buffer
      - .offset:         8
        .size:           8
        .value_kind:     by_value
      - .actual_access:  read_only
        .address_space:  global
        .offset:         16
        .size:           8
        .value_kind:     global_buffer
      - .actual_access:  read_only
        .address_space:  global
        .offset:         24
        .size:           8
        .value_kind:     global_buffer
      - .actual_access:  read_only
        .address_space:  global
        .offset:         32
        .size:           8
        .value_kind:     global_buffer
      - .offset:         40
        .size:           8
        .value_kind:     by_value
      - .actual_access:  read_only
        .address_space:  global
        .offset:         48
        .size:           8
        .value_kind:     global_buffer
      - .actual_access:  read_only
        .address_space:  global
        .offset:         56
        .size:           8
        .value_kind:     global_buffer
      - .offset:         64
        .size:           4
        .value_kind:     by_value
      - .actual_access:  read_only
        .address_space:  global
        .offset:         72
        .size:           8
        .value_kind:     global_buffer
      - .actual_access:  read_only
        .address_space:  global
        .offset:         80
        .size:           8
        .value_kind:     global_buffer
      - .actual_access:  read_only
        .address_space:  global
        .offset:         88
        .size:           8
        .value_kind:     global_buffer
      - .actual_access:  write_only
        .address_space:  global
        .offset:         96
        .size:           8
        .value_kind:     global_buffer
    .group_segment_fixed_size: 0
    .kernarg_segment_align: 8
    .kernarg_segment_size: 104
    .language:       OpenCL C
    .language_version:
      - 2
      - 0
    .max_flat_workgroup_size: 119
    .name:           fft_rtc_back_len289_factors_17_17_wgs_119_tpt_17_sp_op_CI_CI_sbrc_erc_z_xy_aligned_dirReg
    .private_segment_fixed_size: 0
    .sgpr_count:     32
    .sgpr_spill_count: 0
    .symbol:         fft_rtc_back_len289_factors_17_17_wgs_119_tpt_17_sp_op_CI_CI_sbrc_erc_z_xy_aligned_dirReg.kd
    .uniform_work_group_size: 1
    .uses_dynamic_stack: false
    .vgpr_count:     75
    .vgpr_spill_count: 0
    .wavefront_size: 64
amdhsa.target:   amdgcn-amd-amdhsa--gfx906
amdhsa.version:
  - 1
  - 2
...

	.end_amdgpu_metadata
